;; amdgpu-corpus repo=ROCm/rocFFT kind=compiled arch=gfx1100 opt=O3
	.text
	.amdgcn_target "amdgcn-amd-amdhsa--gfx1100"
	.amdhsa_code_object_version 6
	.protected	fft_rtc_fwd_len3125_factors_5_5_5_5_5_wgs_125_tpt_125_halfLds_half_ip_CI_unitstride_sbrr_dirReg ; -- Begin function fft_rtc_fwd_len3125_factors_5_5_5_5_5_wgs_125_tpt_125_halfLds_half_ip_CI_unitstride_sbrr_dirReg
	.globl	fft_rtc_fwd_len3125_factors_5_5_5_5_5_wgs_125_tpt_125_halfLds_half_ip_CI_unitstride_sbrr_dirReg
	.p2align	8
	.type	fft_rtc_fwd_len3125_factors_5_5_5_5_5_wgs_125_tpt_125_halfLds_half_ip_CI_unitstride_sbrr_dirReg,@function
fft_rtc_fwd_len3125_factors_5_5_5_5_5_wgs_125_tpt_125_halfLds_half_ip_CI_unitstride_sbrr_dirReg: ; @fft_rtc_fwd_len3125_factors_5_5_5_5_5_wgs_125_tpt_125_halfLds_half_ip_CI_unitstride_sbrr_dirReg
; %bb.0:
	s_clause 0x2
	s_load_b128 s[4:7], s[0:1], 0x0
	s_load_b64 s[8:9], s[0:1], 0x50
	s_load_b64 s[10:11], s[0:1], 0x18
	v_mul_u32_u24_e32 v1, 0x20d, v0
	v_mov_b32_e32 v3, 0
	v_mov_b32_e32 v4, 0
	s_delay_alu instid0(VALU_DEP_3) | instskip(SKIP_1) | instid1(VALU_DEP_1)
	v_lshrrev_b32_e32 v2, 16, v1
	v_mov_b32_e32 v1, 0
	v_dual_mov_b32 v6, v1 :: v_dual_add_nc_u32 v5, s15, v2
	s_waitcnt lgkmcnt(0)
	v_cmp_lt_u64_e64 s2, s[6:7], 2
	s_delay_alu instid0(VALU_DEP_1)
	s_and_b32 vcc_lo, exec_lo, s2
	s_cbranch_vccnz .LBB0_8
; %bb.1:
	s_load_b64 s[2:3], s[0:1], 0x10
	v_mov_b32_e32 v3, 0
	s_add_u32 s12, s10, 8
	v_mov_b32_e32 v4, 0
	s_addc_u32 s13, s11, 0
	s_mov_b64 s[16:17], 1
	s_waitcnt lgkmcnt(0)
	s_add_u32 s14, s2, 8
	s_addc_u32 s15, s3, 0
.LBB0_2:                                ; =>This Inner Loop Header: Depth=1
	s_load_b64 s[18:19], s[14:15], 0x0
                                        ; implicit-def: $vgpr7_vgpr8
	s_mov_b32 s2, exec_lo
	s_waitcnt lgkmcnt(0)
	v_or_b32_e32 v2, s19, v6
	s_delay_alu instid0(VALU_DEP_1)
	v_cmpx_ne_u64_e32 0, v[1:2]
	s_xor_b32 s3, exec_lo, s2
	s_cbranch_execz .LBB0_4
; %bb.3:                                ;   in Loop: Header=BB0_2 Depth=1
	v_cvt_f32_u32_e32 v2, s18
	v_cvt_f32_u32_e32 v7, s19
	s_sub_u32 s2, 0, s18
	s_subb_u32 s20, 0, s19
	s_delay_alu instid0(VALU_DEP_1) | instskip(NEXT) | instid1(VALU_DEP_1)
	v_fmac_f32_e32 v2, 0x4f800000, v7
	v_rcp_f32_e32 v2, v2
	s_waitcnt_depctr 0xfff
	v_mul_f32_e32 v2, 0x5f7ffffc, v2
	s_delay_alu instid0(VALU_DEP_1) | instskip(NEXT) | instid1(VALU_DEP_1)
	v_mul_f32_e32 v7, 0x2f800000, v2
	v_trunc_f32_e32 v7, v7
	s_delay_alu instid0(VALU_DEP_1) | instskip(SKIP_1) | instid1(VALU_DEP_2)
	v_fmac_f32_e32 v2, 0xcf800000, v7
	v_cvt_u32_f32_e32 v7, v7
	v_cvt_u32_f32_e32 v2, v2
	s_delay_alu instid0(VALU_DEP_2) | instskip(NEXT) | instid1(VALU_DEP_2)
	v_mul_lo_u32 v8, s2, v7
	v_mul_hi_u32 v9, s2, v2
	v_mul_lo_u32 v10, s20, v2
	s_delay_alu instid0(VALU_DEP_2) | instskip(SKIP_1) | instid1(VALU_DEP_2)
	v_add_nc_u32_e32 v8, v9, v8
	v_mul_lo_u32 v9, s2, v2
	v_add_nc_u32_e32 v8, v8, v10
	s_delay_alu instid0(VALU_DEP_2) | instskip(NEXT) | instid1(VALU_DEP_2)
	v_mul_hi_u32 v10, v2, v9
	v_mul_lo_u32 v11, v2, v8
	v_mul_hi_u32 v12, v2, v8
	v_mul_hi_u32 v13, v7, v9
	v_mul_lo_u32 v9, v7, v9
	v_mul_hi_u32 v14, v7, v8
	v_mul_lo_u32 v8, v7, v8
	v_add_co_u32 v10, vcc_lo, v10, v11
	v_add_co_ci_u32_e32 v11, vcc_lo, 0, v12, vcc_lo
	s_delay_alu instid0(VALU_DEP_2) | instskip(NEXT) | instid1(VALU_DEP_2)
	v_add_co_u32 v9, vcc_lo, v10, v9
	v_add_co_ci_u32_e32 v9, vcc_lo, v11, v13, vcc_lo
	v_add_co_ci_u32_e32 v10, vcc_lo, 0, v14, vcc_lo
	s_delay_alu instid0(VALU_DEP_2) | instskip(NEXT) | instid1(VALU_DEP_2)
	v_add_co_u32 v8, vcc_lo, v9, v8
	v_add_co_ci_u32_e32 v9, vcc_lo, 0, v10, vcc_lo
	s_delay_alu instid0(VALU_DEP_2) | instskip(NEXT) | instid1(VALU_DEP_2)
	v_add_co_u32 v2, vcc_lo, v2, v8
	v_add_co_ci_u32_e32 v7, vcc_lo, v7, v9, vcc_lo
	s_delay_alu instid0(VALU_DEP_2) | instskip(SKIP_1) | instid1(VALU_DEP_3)
	v_mul_hi_u32 v8, s2, v2
	v_mul_lo_u32 v10, s20, v2
	v_mul_lo_u32 v9, s2, v7
	s_delay_alu instid0(VALU_DEP_1) | instskip(SKIP_1) | instid1(VALU_DEP_2)
	v_add_nc_u32_e32 v8, v8, v9
	v_mul_lo_u32 v9, s2, v2
	v_add_nc_u32_e32 v8, v8, v10
	s_delay_alu instid0(VALU_DEP_2) | instskip(NEXT) | instid1(VALU_DEP_2)
	v_mul_hi_u32 v10, v2, v9
	v_mul_lo_u32 v11, v2, v8
	v_mul_hi_u32 v12, v2, v8
	v_mul_hi_u32 v13, v7, v9
	v_mul_lo_u32 v9, v7, v9
	v_mul_hi_u32 v14, v7, v8
	v_mul_lo_u32 v8, v7, v8
	v_add_co_u32 v10, vcc_lo, v10, v11
	v_add_co_ci_u32_e32 v11, vcc_lo, 0, v12, vcc_lo
	s_delay_alu instid0(VALU_DEP_2) | instskip(NEXT) | instid1(VALU_DEP_2)
	v_add_co_u32 v9, vcc_lo, v10, v9
	v_add_co_ci_u32_e32 v9, vcc_lo, v11, v13, vcc_lo
	v_add_co_ci_u32_e32 v10, vcc_lo, 0, v14, vcc_lo
	s_delay_alu instid0(VALU_DEP_2) | instskip(NEXT) | instid1(VALU_DEP_2)
	v_add_co_u32 v8, vcc_lo, v9, v8
	v_add_co_ci_u32_e32 v9, vcc_lo, 0, v10, vcc_lo
	s_delay_alu instid0(VALU_DEP_2) | instskip(NEXT) | instid1(VALU_DEP_2)
	v_add_co_u32 v2, vcc_lo, v2, v8
	v_add_co_ci_u32_e32 v13, vcc_lo, v7, v9, vcc_lo
	s_delay_alu instid0(VALU_DEP_2) | instskip(SKIP_1) | instid1(VALU_DEP_3)
	v_mul_hi_u32 v14, v5, v2
	v_mad_u64_u32 v[9:10], null, v6, v2, 0
	v_mad_u64_u32 v[7:8], null, v5, v13, 0
	;; [unrolled: 1-line block ×3, first 2 shown]
	s_delay_alu instid0(VALU_DEP_2) | instskip(NEXT) | instid1(VALU_DEP_3)
	v_add_co_u32 v2, vcc_lo, v14, v7
	v_add_co_ci_u32_e32 v7, vcc_lo, 0, v8, vcc_lo
	s_delay_alu instid0(VALU_DEP_2) | instskip(NEXT) | instid1(VALU_DEP_2)
	v_add_co_u32 v2, vcc_lo, v2, v9
	v_add_co_ci_u32_e32 v2, vcc_lo, v7, v10, vcc_lo
	v_add_co_ci_u32_e32 v7, vcc_lo, 0, v12, vcc_lo
	s_delay_alu instid0(VALU_DEP_2) | instskip(NEXT) | instid1(VALU_DEP_2)
	v_add_co_u32 v2, vcc_lo, v2, v11
	v_add_co_ci_u32_e32 v9, vcc_lo, 0, v7, vcc_lo
	s_delay_alu instid0(VALU_DEP_2) | instskip(SKIP_1) | instid1(VALU_DEP_3)
	v_mul_lo_u32 v10, s19, v2
	v_mad_u64_u32 v[7:8], null, s18, v2, 0
	v_mul_lo_u32 v11, s18, v9
	s_delay_alu instid0(VALU_DEP_2) | instskip(NEXT) | instid1(VALU_DEP_2)
	v_sub_co_u32 v7, vcc_lo, v5, v7
	v_add3_u32 v8, v8, v11, v10
	s_delay_alu instid0(VALU_DEP_1) | instskip(NEXT) | instid1(VALU_DEP_1)
	v_sub_nc_u32_e32 v10, v6, v8
	v_subrev_co_ci_u32_e64 v10, s2, s19, v10, vcc_lo
	v_add_co_u32 v11, s2, v2, 2
	s_delay_alu instid0(VALU_DEP_1) | instskip(SKIP_3) | instid1(VALU_DEP_3)
	v_add_co_ci_u32_e64 v12, s2, 0, v9, s2
	v_sub_co_u32 v13, s2, v7, s18
	v_sub_co_ci_u32_e32 v8, vcc_lo, v6, v8, vcc_lo
	v_subrev_co_ci_u32_e64 v10, s2, 0, v10, s2
	v_cmp_le_u32_e32 vcc_lo, s18, v13
	s_delay_alu instid0(VALU_DEP_3) | instskip(SKIP_1) | instid1(VALU_DEP_4)
	v_cmp_eq_u32_e64 s2, s19, v8
	v_cndmask_b32_e64 v13, 0, -1, vcc_lo
	v_cmp_le_u32_e32 vcc_lo, s19, v10
	v_cndmask_b32_e64 v14, 0, -1, vcc_lo
	v_cmp_le_u32_e32 vcc_lo, s18, v7
	;; [unrolled: 2-line block ×3, first 2 shown]
	v_cndmask_b32_e64 v15, 0, -1, vcc_lo
	v_cmp_eq_u32_e32 vcc_lo, s19, v10
	s_delay_alu instid0(VALU_DEP_2) | instskip(SKIP_3) | instid1(VALU_DEP_3)
	v_cndmask_b32_e64 v7, v15, v7, s2
	v_cndmask_b32_e32 v10, v14, v13, vcc_lo
	v_add_co_u32 v13, vcc_lo, v2, 1
	v_add_co_ci_u32_e32 v14, vcc_lo, 0, v9, vcc_lo
	v_cmp_ne_u32_e32 vcc_lo, 0, v10
	s_delay_alu instid0(VALU_DEP_2) | instskip(NEXT) | instid1(VALU_DEP_4)
	v_cndmask_b32_e32 v8, v14, v12, vcc_lo
	v_cndmask_b32_e32 v10, v13, v11, vcc_lo
	v_cmp_ne_u32_e32 vcc_lo, 0, v7
	s_delay_alu instid0(VALU_DEP_2)
	v_dual_cndmask_b32 v7, v2, v10 :: v_dual_cndmask_b32 v8, v9, v8
.LBB0_4:                                ;   in Loop: Header=BB0_2 Depth=1
	s_and_not1_saveexec_b32 s2, s3
	s_cbranch_execz .LBB0_6
; %bb.5:                                ;   in Loop: Header=BB0_2 Depth=1
	v_cvt_f32_u32_e32 v2, s18
	s_sub_i32 s3, 0, s18
	s_delay_alu instid0(VALU_DEP_1) | instskip(SKIP_2) | instid1(VALU_DEP_1)
	v_rcp_iflag_f32_e32 v2, v2
	s_waitcnt_depctr 0xfff
	v_mul_f32_e32 v2, 0x4f7ffffe, v2
	v_cvt_u32_f32_e32 v2, v2
	s_delay_alu instid0(VALU_DEP_1) | instskip(NEXT) | instid1(VALU_DEP_1)
	v_mul_lo_u32 v7, s3, v2
	v_mul_hi_u32 v7, v2, v7
	s_delay_alu instid0(VALU_DEP_1) | instskip(NEXT) | instid1(VALU_DEP_1)
	v_add_nc_u32_e32 v2, v2, v7
	v_mul_hi_u32 v2, v5, v2
	s_delay_alu instid0(VALU_DEP_1) | instskip(SKIP_1) | instid1(VALU_DEP_2)
	v_mul_lo_u32 v7, v2, s18
	v_add_nc_u32_e32 v8, 1, v2
	v_sub_nc_u32_e32 v7, v5, v7
	s_delay_alu instid0(VALU_DEP_1) | instskip(SKIP_1) | instid1(VALU_DEP_2)
	v_subrev_nc_u32_e32 v9, s18, v7
	v_cmp_le_u32_e32 vcc_lo, s18, v7
	v_dual_cndmask_b32 v7, v7, v9 :: v_dual_cndmask_b32 v2, v2, v8
	s_delay_alu instid0(VALU_DEP_1) | instskip(NEXT) | instid1(VALU_DEP_2)
	v_cmp_le_u32_e32 vcc_lo, s18, v7
	v_add_nc_u32_e32 v8, 1, v2
	s_delay_alu instid0(VALU_DEP_1)
	v_dual_cndmask_b32 v7, v2, v8 :: v_dual_mov_b32 v8, v1
.LBB0_6:                                ;   in Loop: Header=BB0_2 Depth=1
	s_or_b32 exec_lo, exec_lo, s2
	s_load_b64 s[2:3], s[12:13], 0x0
	s_delay_alu instid0(VALU_DEP_1) | instskip(NEXT) | instid1(VALU_DEP_2)
	v_mul_lo_u32 v2, v8, s18
	v_mul_lo_u32 v11, v7, s19
	v_mad_u64_u32 v[9:10], null, v7, s18, 0
	s_add_u32 s16, s16, 1
	s_addc_u32 s17, s17, 0
	s_add_u32 s12, s12, 8
	s_addc_u32 s13, s13, 0
	;; [unrolled: 2-line block ×3, first 2 shown]
	s_delay_alu instid0(VALU_DEP_1) | instskip(SKIP_1) | instid1(VALU_DEP_2)
	v_add3_u32 v2, v10, v11, v2
	v_sub_co_u32 v9, vcc_lo, v5, v9
	v_sub_co_ci_u32_e32 v2, vcc_lo, v6, v2, vcc_lo
	s_waitcnt lgkmcnt(0)
	s_delay_alu instid0(VALU_DEP_2) | instskip(NEXT) | instid1(VALU_DEP_2)
	v_mul_lo_u32 v10, s3, v9
	v_mul_lo_u32 v2, s2, v2
	v_mad_u64_u32 v[5:6], null, s2, v9, v[3:4]
	v_cmp_ge_u64_e64 s2, s[16:17], s[6:7]
	s_delay_alu instid0(VALU_DEP_1) | instskip(NEXT) | instid1(VALU_DEP_2)
	s_and_b32 vcc_lo, exec_lo, s2
	v_add3_u32 v4, v10, v6, v2
	s_delay_alu instid0(VALU_DEP_3)
	v_mov_b32_e32 v3, v5
	s_cbranch_vccnz .LBB0_9
; %bb.7:                                ;   in Loop: Header=BB0_2 Depth=1
	v_dual_mov_b32 v5, v7 :: v_dual_mov_b32 v6, v8
	s_branch .LBB0_2
.LBB0_8:
	v_dual_mov_b32 v8, v6 :: v_dual_mov_b32 v7, v5
.LBB0_9:
	s_lshl_b64 s[2:3], s[6:7], 3
                                        ; implicit-def: $vgpr15
                                        ; implicit-def: $vgpr20
                                        ; implicit-def: $vgpr16
                                        ; implicit-def: $vgpr13
                                        ; implicit-def: $vgpr17
                                        ; implicit-def: $vgpr12
                                        ; implicit-def: $vgpr18
                                        ; implicit-def: $vgpr19
                                        ; implicit-def: $vgpr10
                                        ; implicit-def: $vgpr30
                                        ; implicit-def: $vgpr29
                                        ; implicit-def: $vgpr31
                                        ; implicit-def: $vgpr26
                                        ; implicit-def: $vgpr32
                                        ; implicit-def: $vgpr27
                                        ; implicit-def: $vgpr28
                                        ; implicit-def: $vgpr24
                                        ; implicit-def: $vgpr9
                                        ; implicit-def: $vgpr42
                                        ; implicit-def: $vgpr40
                                        ; implicit-def: $vgpr43
                                        ; implicit-def: $vgpr38
                                        ; implicit-def: $vgpr44
                                        ; implicit-def: $vgpr39
                                        ; implicit-def: $vgpr41
                                        ; implicit-def: $vgpr37
                                        ; implicit-def: $vgpr49
                                        ; implicit-def: $vgpr47
                                        ; implicit-def: $vgpr50
                                        ; implicit-def: $vgpr45
                                        ; implicit-def: $vgpr51
                                        ; implicit-def: $vgpr46
                                        ; implicit-def: $vgpr48
                                        ; implicit-def: $vgpr35
                                        ; implicit-def: $vgpr52
                                        ; implicit-def: $vgpr33
                                        ; implicit-def: $vgpr53
                                        ; implicit-def: $vgpr23
                                        ; implicit-def: $vgpr54
                                        ; implicit-def: $vgpr25
                                        ; implicit-def: $vgpr36
                                        ; implicit-def: $vgpr22
                                        ; implicit-def: $vgpr14
                                        ; implicit-def: $vgpr11
	s_delay_alu instid0(SALU_CYCLE_1)
	s_add_u32 s2, s10, s2
	s_addc_u32 s3, s11, s3
	s_load_b64 s[2:3], s[2:3], 0x0
	s_load_b64 s[0:1], s[0:1], 0x20
	s_waitcnt lgkmcnt(0)
	v_mul_lo_u32 v5, s2, v8
	v_mul_lo_u32 v6, s3, v7
	v_mad_u64_u32 v[1:2], null, s2, v7, v[3:4]
	v_mul_hi_u32 v3, 0x20c49bb, v0
	v_cmp_gt_u64_e32 vcc_lo, s[0:1], v[7:8]
                                        ; implicit-def: $vgpr8
                                        ; implicit-def: $vgpr7
	s_delay_alu instid0(VALU_DEP_3) | instskip(NEXT) | instid1(VALU_DEP_3)
	v_add3_u32 v2, v6, v2, v5
	v_mul_u32_u24_e32 v3, 0x7d, v3
	s_delay_alu instid0(VALU_DEP_2) | instskip(NEXT) | instid1(VALU_DEP_2)
	v_lshlrev_b64 v[4:5], 2, v[1:2]
                                        ; implicit-def: $vgpr1
                                        ; implicit-def: $vgpr2
	v_sub_nc_u32_e32 v6, v0, v3
                                        ; implicit-def: $vgpr0
                                        ; implicit-def: $vgpr3
	s_and_saveexec_b32 s1, vcc_lo
	s_cbranch_execz .LBB0_11
; %bb.10:
	v_mov_b32_e32 v7, 0
	s_delay_alu instid0(VALU_DEP_3) | instskip(NEXT) | instid1(VALU_DEP_1)
	v_add_co_u32 v2, s0, s8, v4
	v_add_co_ci_u32_e64 v3, s0, s9, v5, s0
	s_delay_alu instid0(VALU_DEP_3) | instskip(NEXT) | instid1(VALU_DEP_1)
	v_lshlrev_b64 v[0:1], 2, v[6:7]
	v_add_co_u32 v0, s0, v2, v0
	s_delay_alu instid0(VALU_DEP_1) | instskip(NEXT) | instid1(VALU_DEP_2)
	v_add_co_ci_u32_e64 v1, s0, v3, v1, s0
	v_add_co_u32 v2, s0, 0x1000, v0
	s_delay_alu instid0(VALU_DEP_1) | instskip(SKIP_1) | instid1(VALU_DEP_1)
	v_add_co_ci_u32_e64 v3, s0, 0, v1, s0
	v_add_co_u32 v14, s0, 0x2000, v0
	v_add_co_ci_u32_e64 v15, s0, 0, v1, s0
	s_clause 0x18
	global_load_b32 v11, v[0:1], off
	global_load_b32 v7, v[0:1], off offset:500
	global_load_b32 v22, v[0:1], off offset:2500
	;; [unrolled: 1-line block ×24, first 2 shown]
	s_waitcnt vmcnt(24)
	v_lshrrev_b32_e32 v14, 16, v11
	s_waitcnt vmcnt(23)
	v_lshrrev_b32_e32 v3, 16, v7
	;; [unrolled: 2-line block ×25, first 2 shown]
.LBB0_11:
	s_or_b32 exec_lo, exec_lo, s1
	v_add_f16_e32 v21, v23, v25
	v_add_f16_e32 v55, v22, v11
	v_sub_f16_e32 v58, v22, v25
	v_sub_f16_e32 v56, v36, v52
	v_add_f16_e32 v59, v33, v22
	v_fma_f16 v34, -0.5, v21, v11
	v_sub_f16_e32 v21, v33, v23
	v_add_f16_e32 v55, v25, v55
	v_sub_f16_e32 v57, v54, v53
	v_fmac_f16_e32 v11, -0.5, v59
	v_fmamk_f16 v61, v56, 0x3b9c, v34
	v_add_f16_e32 v58, v21, v58
	v_add_f16_e32 v21, v23, v55
	v_fmac_f16_e32 v34, 0xbb9c, v56
	v_sub_f16_e32 v60, v25, v22
	v_fmac_f16_e32 v61, 0x38b4, v57
	v_sub_f16_e32 v55, v23, v33
	v_add_f16_e32 v62, v33, v21
	v_add_f16_e32 v21, v36, v14
	v_fmamk_f16 v59, v57, 0xbb9c, v11
	v_fmac_f16_e32 v34, 0xb8b4, v57
	v_add_f16_e32 v63, v53, v54
	v_fmac_f16_e32 v11, 0x3b9c, v57
	v_add_f16_e32 v57, v54, v21
	;; [unrolled: 2-line block ×3, first 2 shown]
	v_fma_f16 v21, -0.5, v63, v14
	v_sub_f16_e32 v33, v22, v33
	v_fmac_f16_e32 v11, 0xb8b4, v56
	v_add_f16_e32 v56, v53, v57
	v_fmac_f16_e32 v61, 0x34f2, v58
	v_fmac_f16_e32 v34, 0x34f2, v58
	;; [unrolled: 1-line block ×3, first 2 shown]
	v_fmamk_f16 v22, v33, 0xbb9c, v21
	v_sub_f16_e32 v57, v25, v23
	v_sub_f16_e32 v25, v36, v54
	;; [unrolled: 1-line block ×3, first 2 shown]
	v_fmac_f16_e32 v11, 0x34f2, v55
	v_add_f16_e32 v55, v52, v36
	v_add_f16_e32 v23, v52, v56
	v_fmac_f16_e32 v21, 0x3b9c, v33
	v_sub_f16_e32 v54, v54, v36
	v_sub_f16_e32 v52, v53, v52
	v_add_f16_e32 v53, v45, v46
	v_fmac_f16_e32 v22, 0xb8b4, v57
	v_add_f16_e32 v25, v58, v25
	v_fmac_f16_e32 v14, -0.5, v55
	v_fmac_f16_e32 v21, 0x38b4, v57
	v_add_f16_e32 v52, v52, v54
	v_add_f16_e32 v54, v35, v7
	v_fma_f16 v53, -0.5, v53, v7
	v_sub_f16_e32 v55, v48, v49
	v_add_f16_e32 v63, v47, v35
	v_fmac_f16_e32 v22, 0x34f2, v25
	v_fmamk_f16 v36, v57, 0x3b9c, v14
	v_fmac_f16_e32 v21, 0x34f2, v25
	v_mul_f16_e32 v25, 0x34f2, v52
	v_add_f16_e32 v52, v46, v54
	v_fmamk_f16 v54, v55, 0x3b9c, v53
	v_sub_f16_e32 v56, v51, v50
	v_sub_f16_e32 v58, v35, v46
	;; [unrolled: 1-line block ×3, first 2 shown]
	v_fmac_f16_e32 v14, 0xbb9c, v57
	v_fmac_f16_e32 v7, -0.5, v63
	v_fmac_f16_e32 v53, 0xbb9c, v55
	v_add_f16_e32 v63, v48, v3
	v_fmac_f16_e32 v36, 0xb8b4, v33
	v_add_f16_e32 v52, v45, v52
	;; [unrolled: 2-line block ×3, first 2 shown]
	v_fmac_f16_e32 v14, 0x38b4, v33
	v_fmamk_f16 v58, v56, 0xbb9c, v7
	v_sub_f16_e32 v33, v46, v35
	v_sub_f16_e32 v60, v45, v47
	v_fmac_f16_e32 v53, 0xb8b4, v56
	v_add_f16_e32 v64, v50, v51
	v_fmac_f16_e32 v7, 0x3b9c, v56
	v_add_f16_e32 v56, v51, v63
	v_add_f16_e32 v52, v47, v52
	v_fmac_f16_e32 v58, 0x38b4, v55
	v_add_f16_e32 v60, v60, v33
	v_fma_f16 v33, -0.5, v64, v3
	v_sub_f16_e32 v47, v35, v47
	v_fmac_f16_e32 v7, 0xb8b4, v55
	v_add_f16_e32 v55, v50, v56
	v_fmac_f16_e32 v54, 0x34f2, v57
	v_fmac_f16_e32 v53, 0x34f2, v57
	v_fmamk_f16 v35, v47, 0xbb9c, v33
	v_sub_f16_e32 v45, v46, v45
	v_sub_f16_e32 v46, v48, v51
	;; [unrolled: 1-line block ×3, first 2 shown]
	v_add_f16_e32 v57, v49, v48
	v_add_f16_e32 v55, v49, v55
	v_fmac_f16_e32 v33, 0x3b9c, v47
	v_sub_f16_e32 v48, v51, v48
	v_sub_f16_e32 v49, v50, v49
	v_add_f16_e32 v50, v38, v39
	v_fmac_f16_e32 v35, 0xb8b4, v45
	v_add_f16_e32 v46, v56, v46
	v_fmac_f16_e32 v3, -0.5, v57
	v_fmac_f16_e32 v33, 0x38b4, v45
	v_add_f16_e32 v48, v49, v48
	v_add_f16_e32 v49, v37, v8
	v_fma_f16 v50, -0.5, v50, v8
	v_sub_f16_e32 v56, v41, v42
	v_add_f16_e32 v64, v40, v37
	v_fmac_f16_e32 v58, 0x34f2, v60
	v_fmac_f16_e32 v7, 0x34f2, v60
	;; [unrolled: 1-line block ×3, first 2 shown]
	v_fmamk_f16 v51, v45, 0x3b9c, v3
	v_fmac_f16_e32 v33, 0x34f2, v46
	v_mul_f16_e32 v46, 0x34f2, v48
	v_add_f16_e32 v48, v39, v49
	v_fmamk_f16 v49, v56, 0x3b9c, v50
	v_sub_f16_e32 v57, v44, v43
	v_sub_f16_e32 v60, v37, v39
	;; [unrolled: 1-line block ×3, first 2 shown]
	v_fmac_f16_e32 v3, 0xbb9c, v45
	v_fmac_f16_e32 v8, -0.5, v64
	v_fmac_f16_e32 v50, 0xbb9c, v56
	v_add_f16_e32 v64, v41, v2
	v_fmac_f16_e32 v51, 0xb8b4, v47
	v_add_f16_e32 v45, v38, v48
	;; [unrolled: 2-line block ×3, first 2 shown]
	v_fmac_f16_e32 v3, 0x38b4, v47
	v_fmamk_f16 v47, v57, 0xbb9c, v8
	v_sub_f16_e32 v60, v39, v37
	v_sub_f16_e32 v63, v38, v40
	v_fmac_f16_e32 v50, 0xb8b4, v57
	v_add_f16_e32 v65, v43, v44
	v_fmac_f16_e32 v8, 0x3b9c, v57
	v_add_f16_e32 v57, v44, v64
	v_add_f16_e32 v45, v40, v45
	;; [unrolled: 1-line block ×3, first 2 shown]
	v_fma_f16 v63, -0.5, v65, v2
	v_sub_f16_e32 v37, v37, v40
	v_add_f16_e32 v40, v43, v57
	v_fmac_f16_e32 v49, 0x34f2, v48
	v_fmac_f16_e32 v47, 0x38b4, v56
	v_fmac_f16_e32 v50, 0x34f2, v48
	v_fmac_f16_e32 v8, 0xb8b4, v56
	v_fmamk_f16 v48, v37, 0xbb9c, v63
	v_sub_f16_e32 v38, v39, v38
	v_sub_f16_e32 v39, v41, v44
	;; [unrolled: 1-line block ×3, first 2 shown]
	v_add_f16_e32 v57, v42, v41
	v_add_f16_e32 v40, v42, v40
	v_fmac_f16_e32 v63, 0x3b9c, v37
	v_sub_f16_e32 v41, v44, v41
	v_sub_f16_e32 v42, v43, v42
	v_fmac_f16_e32 v48, 0xb8b4, v38
	v_add_f16_e32 v39, v56, v39
	v_add_f16_e32 v43, v26, v27
	v_fmac_f16_e32 v63, 0x38b4, v38
	v_add_f16_e32 v41, v42, v41
	v_add_f16_e32 v42, v24, v9
	v_fmac_f16_e32 v2, -0.5, v57
	v_fmac_f16_e32 v48, 0x34f2, v39
	v_fma_f16 v43, -0.5, v43, v9
	v_sub_f16_e32 v56, v28, v30
	v_fmac_f16_e32 v63, 0x34f2, v39
	v_mul_f16_e32 v39, 0x34f2, v41
	v_add_f16_e32 v41, v27, v42
	v_add_f16_e32 v65, v29, v24
	v_fmac_f16_e32 v47, 0x34f2, v60
	v_fmac_f16_e32 v8, 0x34f2, v60
	v_fmamk_f16 v44, v38, 0x3b9c, v2
	v_fmamk_f16 v42, v56, 0x3b9c, v43
	v_sub_f16_e32 v57, v32, v31
	v_sub_f16_e32 v60, v24, v27
	v_sub_f16_e32 v64, v29, v26
	v_fmac_f16_e32 v2, 0xbb9c, v38
	v_add_f16_e32 v38, v26, v41
	v_fmac_f16_e32 v9, -0.5, v65
	v_fmac_f16_e32 v43, 0xbb9c, v56
	v_add_f16_e32 v65, v28, v1
	v_fmac_f16_e32 v44, 0xb8b4, v37
	v_fmac_f16_e32 v42, 0x38b4, v57
	v_add_f16_e32 v41, v64, v60
	v_fmac_f16_e32 v2, 0x38b4, v37
	v_add_f16_e32 v37, v29, v38
	v_fmamk_f16 v38, v57, 0xbb9c, v9
	v_sub_f16_e32 v60, v27, v24
	v_sub_f16_e32 v64, v26, v29
	v_fmac_f16_e32 v43, 0xb8b4, v57
	v_add_f16_e32 v66, v31, v32
	v_fmac_f16_e32 v9, 0x3b9c, v57
	v_add_f16_e32 v57, v32, v65
	v_add_f16_e32 v60, v64, v60
	v_sub_f16_e32 v24, v24, v29
	v_fma_f16 v64, -0.5, v66, v1
	v_fmac_f16_e32 v42, 0x34f2, v41
	v_add_f16_e32 v29, v31, v57
	v_add_f16_e32 v57, v30, v28
	v_fmac_f16_e32 v38, 0x38b4, v56
	v_fmac_f16_e32 v43, 0x34f2, v41
	;; [unrolled: 1-line block ×3, first 2 shown]
	v_fmamk_f16 v41, v24, 0xbb9c, v64
	v_sub_f16_e32 v26, v27, v26
	v_sub_f16_e32 v27, v28, v32
	;; [unrolled: 1-line block ×3, first 2 shown]
	v_add_f16_e32 v29, v30, v29
	v_fmac_f16_e32 v64, 0x3b9c, v24
	v_fmac_f16_e32 v1, -0.5, v57
	v_sub_f16_e32 v28, v32, v28
	v_sub_f16_e32 v30, v31, v30
	v_add_f16_e32 v31, v13, v12
	v_fmac_f16_e32 v41, 0xb8b4, v26
	v_add_f16_e32 v27, v56, v27
	v_fmac_f16_e32 v64, 0x38b4, v26
	v_fmamk_f16 v32, v26, 0x3b9c, v1
	v_add_f16_e32 v28, v30, v28
	v_add_f16_e32 v30, v19, v10
	v_fma_f16 v31, -0.5, v31, v10
	v_sub_f16_e32 v56, v18, v15
	v_fmac_f16_e32 v1, 0xbb9c, v26
	v_add_f16_e32 v26, v20, v19
	v_fmac_f16_e32 v41, 0x34f2, v27
	v_fmac_f16_e32 v64, 0x34f2, v27
	v_mul_f16_e32 v27, 0x34f2, v28
	v_add_f16_e32 v28, v12, v30
	v_fmamk_f16 v30, v56, 0x3b9c, v31
	v_sub_f16_e32 v57, v17, v16
	v_fmac_f16_e32 v31, 0xbb9c, v56
	v_fmac_f16_e32 v10, -0.5, v26
	v_fmac_f16_e32 v38, 0x34f2, v60
	v_fmac_f16_e32 v9, 0x34f2, v60
	v_sub_f16_e32 v60, v19, v12
	v_sub_f16_e32 v65, v20, v13
	v_add_f16_e32 v28, v13, v28
	v_fmac_f16_e32 v30, 0x38b4, v57
	v_fmac_f16_e32 v31, 0xb8b4, v57
	v_fmamk_f16 v26, v57, 0xbb9c, v10
	v_fmac_f16_e32 v10, 0x3b9c, v57
	v_add_f16_e32 v57, v18, v0
	v_fmac_f16_e32 v32, 0xb8b4, v24
	v_add_f16_e32 v60, v65, v60
	;; [unrolled: 2-line block ×3, first 2 shown]
	v_sub_f16_e32 v28, v12, v19
	v_sub_f16_e32 v65, v13, v20
	v_add_f16_e32 v66, v16, v17
	v_fmac_f16_e32 v26, 0x38b4, v56
	v_fmac_f16_e32 v10, 0xb8b4, v56
	v_add_f16_e32 v56, v17, v57
	v_add_f16_e32 v28, v65, v28
	v_fma_f16 v57, -0.5, v66, v0
	v_sub_f16_e32 v19, v19, v20
	v_fmac_f16_e32 v30, 0x34f2, v60
	v_add_f16_e32 v20, v16, v56
	v_add_f16_e32 v56, v15, v18
	v_fmac_f16_e32 v31, 0x34f2, v60
	v_sub_f16_e32 v12, v12, v13
	v_sub_f16_e32 v13, v18, v17
	v_sub_f16_e32 v60, v15, v16
	v_sub_f16_e32 v17, v17, v18
	v_sub_f16_e32 v16, v16, v15
	v_fmac_f16_e32 v26, 0x34f2, v28
	v_fmac_f16_e32 v10, 0x34f2, v28
	v_fmamk_f16 v28, v19, 0xbb9c, v57
	v_fmac_f16_e32 v57, 0x3b9c, v19
	v_fmac_f16_e32 v0, -0.5, v56
	v_add_f16_e32 v16, v16, v17
	v_mad_u32_u24 v65, v6, 10, 0
	v_fmac_f16_e32 v28, 0xb8b4, v12
	v_fmac_f16_e32 v57, 0x38b4, v12
	v_fmamk_f16 v56, v12, 0x3b9c, v0
	v_fmac_f16_e32 v0, 0xbb9c, v12
	v_pack_b32_f16 v12, v59, v11
	v_pack_b32_f16 v11, v62, v61
	v_add_f16_e32 v13, v60, v13
	v_add_f16_e32 v20, v15, v20
	v_mul_f16_e32 v60, 0x34f2, v16
	v_pack_b32_f16 v16, v58, v7
	v_pack_b32_f16 v15, v52, v54
	;; [unrolled: 1-line block ×4, first 2 shown]
	ds_store_b64 v65, v[11:12]
	ds_store_b16 v65, v34 offset:8
	ds_store_b64 v65, v[15:16] offset:1250
	ds_store_b16 v65, v53 offset:1258
	v_pack_b32_f16 v12, v38, v9
	v_pack_b32_f16 v11, v37, v42
	v_lshlrev_b32_e32 v15, 3, v6
	ds_store_b64 v65, v[7:8] offset:2500
	ds_store_b16 v65, v50 offset:2508
	ds_store_b64 v65, v[11:12] offset:3750
	ds_store_b16 v65, v43 offset:3758
	v_pack_b32_f16 v11, v36, v14
	v_and_b32_e32 v7, 0xff, v6
	v_sub_nc_u32_e32 v12, v65, v15
	v_pack_b32_f16 v3, v51, v3
	v_pack_b32_f16 v14, v23, v22
	v_pk_add_f16 v15, v25, v11 op_sel_hi:[0,1]
	v_mul_lo_u16 v11, 0xcd, v7
	v_fmac_f16_e32 v56, 0xb8b4, v19
	v_fmac_f16_e32 v0, 0x38b4, v19
	v_pack_b32_f16 v10, v26, v10
	v_pack_b32_f16 v9, v24, v30
	v_lshrrev_b16 v22, 10, v11
	v_pack_b32_f16 v2, v44, v2
	v_pk_add_f16 v19, v46, v3 op_sel_hi:[0,1]
	v_pack_b32_f16 v18, v55, v35
	v_pack_b32_f16 v11, v32, v1
	v_mul_lo_u16 v3, v22, 5
	v_fmac_f16_e32 v28, 0x34f2, v13
	v_fmac_f16_e32 v57, 0x34f2, v13
	v_add_nc_u32_e32 v13, 0x7d, v6
	ds_store_b64 v65, v[9:10] offset:5000
	ds_store_b16 v65, v31 offset:5008
	s_waitcnt lgkmcnt(0)
	s_barrier
	buffer_gl0_inv
	ds_load_u16 v49, v12 offset:1500
	ds_load_u16 v54, v12 offset:1750
	ds_load_u16 v17, v12
	ds_load_u16 v16, v12 offset:250
	ds_load_u16 v9, v12 offset:500
	;; [unrolled: 1-line block ×22, first 2 shown]
	s_waitcnt lgkmcnt(0)
	s_barrier
	buffer_gl0_inv
	ds_store_b64 v65, v[14:15]
	ds_store_b16 v65, v21 offset:8
	ds_store_b64 v65, v[18:19] offset:1250
	ds_store_b16 v65, v33 offset:1258
	v_pk_add_f16 v1, v39, v2 op_sel_hi:[0,1]
	v_pack_b32_f16 v14, v56, v0
	v_pack_b32_f16 v0, v40, v48
	v_sub_nc_u16 v18, v6, v3
	v_pk_add_f16 v3, v27, v11 op_sel_hi:[0,1]
	v_pack_b32_f16 v2, v29, v41
	ds_store_b64 v65, v[0:1] offset:2500
	ds_store_b16 v65, v63 offset:2508
	ds_store_b64 v65, v[2:3] offset:3750
	ds_store_b16 v65, v64 offset:3758
	v_and_b32_e32 v3, 0xff, v13
	v_and_b32_e32 v23, 0xff, v18
	v_pk_add_f16 v15, v60, v14 op_sel_hi:[0,1]
	v_pack_b32_f16 v14, v20, v28
	ds_store_b64 v65, v[14:15] offset:5000
	ds_store_b16 v65, v57 offset:5008
	v_mul_lo_u16 v1, 0xcd, v3
	v_lshlrev_b32_e32 v0, 4, v23
	s_waitcnt lgkmcnt(0)
	s_barrier
	buffer_gl0_inv
	v_lshrrev_b16 v25, 10, v1
	global_load_b128 v[33:36], v0, s[4:5]
	v_add_nc_u32_e32 v14, 0xfa, v6
	v_add_nc_u32_e32 v15, 0x177, v6
	v_and_b32_e32 v22, 0xffff, v22
	v_mul_lo_u16 v0, v25, 5
	v_and_b32_e32 v25, 0xffff, v25
	v_and_b32_e32 v2, 0xffff, v14
	v_lshlrev_b32_e32 v23, 1, v23
	v_mul_u32_u24_e32 v22, 50, v22
	v_sub_nc_u16 v0, v13, v0
	v_mul_u32_u24_e32 v25, 50, v25
	v_mul_lo_u16 v7, v7, 41
	v_mul_lo_u16 v3, v3, 41
	v_add3_u32 v22, 0, v22, v23
	v_and_b32_e32 v27, 0xff, v0
	v_mul_u32_u24_e32 v0, 0xcccd, v2
	v_lshrrev_b16 v7, 10, v7
	v_lshrrev_b16 v3, 10, v3
	s_delay_alu instid0(VALU_DEP_4) | instskip(NEXT) | instid1(VALU_DEP_4)
	v_lshlrev_b32_e32 v1, 4, v27
	v_lshrrev_b32_e32 v26, 18, v0
	v_lshlrev_b32_e32 v27, 1, v27
	global_load_b128 v[37:40], v1, s[4:5]
	v_mul_lo_u16 v0, v26, 5
	v_add3_u32 v23, 0, v25, v27
	v_mul_u32_u24_e32 v25, 50, v26
	s_delay_alu instid0(VALU_DEP_3) | instskip(NEXT) | instid1(VALU_DEP_1)
	v_sub_nc_u16 v0, v14, v0
	v_and_b32_e32 v29, 0xffff, v0
	s_delay_alu instid0(VALU_DEP_1) | instskip(SKIP_4) | instid1(VALU_DEP_2)
	v_lshlrev_b32_e32 v0, 4, v29
	v_lshlrev_b32_e32 v26, 1, v29
	global_load_b128 v[41:44], v0, s[4:5]
	v_and_b32_e32 v1, 0xffff, v15
	v_add3_u32 v25, 0, v25, v26
	v_mul_u32_u24_e32 v11, 0xcccd, v1
	s_delay_alu instid0(VALU_DEP_1) | instskip(SKIP_1) | instid1(VALU_DEP_2)
	v_lshrrev_b32_e32 v28, 18, v11
	v_add_nc_u32_e32 v11, 0x1f4, v6
	v_mul_lo_u16 v18, v28, 5
	s_delay_alu instid0(VALU_DEP_2) | instskip(NEXT) | instid1(VALU_DEP_2)
	v_and_b32_e32 v0, 0xffff, v11
	v_sub_nc_u16 v18, v15, v18
	s_delay_alu instid0(VALU_DEP_1) | instskip(NEXT) | instid1(VALU_DEP_3)
	v_and_b32_e32 v32, 0xffff, v18
	v_mul_u32_u24_e32 v18, 0xcccd, v0
	s_delay_alu instid0(VALU_DEP_2) | instskip(NEXT) | instid1(VALU_DEP_2)
	v_lshlrev_b32_e32 v19, 4, v32
	v_lshrrev_b32_e32 v30, 18, v18
	v_lshlrev_b32_e32 v26, 1, v32
	global_load_b128 v[45:48], v19, s[4:5]
	v_mul_lo_u16 v18, v30, 5
	s_delay_alu instid0(VALU_DEP_1) | instskip(NEXT) | instid1(VALU_DEP_1)
	v_sub_nc_u16 v18, v11, v18
	v_and_b32_e32 v31, 0xffff, v18
	s_delay_alu instid0(VALU_DEP_1)
	v_lshlrev_b32_e32 v18, 4, v31
	global_load_b128 v[50:53], v18, s[4:5]
	ds_load_u16 v55, v12 offset:1250
	ds_load_u16 v56, v12 offset:2500
	;; [unrolled: 1-line block ×5, first 2 shown]
	ds_load_u16 v24, v12
	ds_load_u16 v21, v12 offset:250
	ds_load_u16 v20, v12 offset:500
	;; [unrolled: 1-line block ×14, first 2 shown]
	s_waitcnt vmcnt(4)
	v_lshrrev_b32_e32 v81, 16, v33
	v_lshrrev_b32_e32 v89, 16, v34
	;; [unrolled: 1-line block ×3, first 2 shown]
	s_waitcnt lgkmcnt(19)
	s_delay_alu instid0(VALU_DEP_3) | instskip(SKIP_1) | instid1(VALU_DEP_2)
	v_mul_f16_e32 v88, v55, v81
	v_mul_f16_e32 v81, v72, v81
	v_fma_f16 v72, v72, v33, -v88
	s_waitcnt lgkmcnt(18)
	v_mul_f16_e32 v88, v56, v89
	v_mul_f16_e32 v89, v75, v89
	v_fmac_f16_e32 v81, v55, v33
	s_waitcnt lgkmcnt(17)
	v_mul_f16_e32 v33, v57, v91
	v_lshrrev_b32_e32 v55, 16, v36
	v_fma_f16 v75, v75, v34, -v88
	v_fmac_f16_e32 v89, v56, v34
	v_mul_f16_e32 v56, v73, v91
	v_fma_f16 v73, v73, v35, -v33
	ds_load_u16 v33, v12 offset:4000
	s_waitcnt lgkmcnt(8)
	v_mul_f16_e32 v34, v82, v55
	v_mul_f16_e32 v55, v77, v55
	v_fmac_f16_e32 v56, v57, v35
	ds_load_u16 v57, v12 offset:2000
	s_waitcnt vmcnt(3)
	v_lshrrev_b32_e32 v35, 16, v37
	v_fma_f16 v34, v77, v36, -v34
	v_fmac_f16_e32 v55, v82, v36
	v_lshrrev_b32_e32 v36, 16, v38
	ds_load_u16 v82, v12 offset:4250
	ds_load_u16 v88, v12 offset:4500
	v_mul_f16_e32 v77, v60, v35
	v_mul_f16_e32 v91, v49, v35
	v_lshrrev_b32_e32 v35, 16, v39
	v_mul_f16_e32 v92, v64, v36
	s_delay_alu instid0(VALU_DEP_4)
	v_fma_f16 v77, v49, v37, -v77
	v_lshrrev_b32_e32 v49, 16, v40
	v_fmac_f16_e32 v91, v60, v37
	v_mul_f16_e32 v60, v59, v36
	v_mul_f16_e32 v93, v66, v35
	s_waitcnt lgkmcnt(3)
	v_mul_f16_e32 v36, v33, v35
	v_mul_f16_e32 v35, v83, v49
	v_fma_f16 v59, v59, v38, -v92
	v_fmac_f16_e32 v60, v64, v38
	v_fmac_f16_e32 v93, v33, v39
	v_fma_f16 v64, v66, v39, -v36
	v_mul_f16_e32 v66, v69, v49
	s_waitcnt vmcnt(2)
	v_lshrrev_b32_e32 v33, 16, v41
	v_fma_f16 v69, v69, v40, -v35
	v_lshrrev_b32_e32 v35, 16, v42
	v_lshrrev_b32_e32 v36, 16, v43
	v_fmac_f16_e32 v66, v83, v40
	v_mul_f16_e32 v37, v63, v33
	v_mul_f16_e32 v83, v54, v33
	;; [unrolled: 1-line block ×3, first 2 shown]
	v_lshrrev_b32_e32 v38, 16, v44
	v_mul_f16_e32 v94, v61, v35
	v_fma_f16 v54, v54, v41, -v37
	v_fmac_f16_e32 v83, v63, v41
	v_fma_f16 v61, v61, v42, -v33
	s_waitcnt lgkmcnt(1)
	v_mul_f16_e32 v33, v82, v36
	v_mul_f16_e32 v35, v84, v38
	v_fmac_f16_e32 v94, v65, v42
	v_mul_f16_e32 v63, v67, v36
	v_mul_f16_e32 v65, v70, v38
	v_fma_f16 v67, v67, v43, -v33
	v_fma_f16 v70, v70, v44, -v35
	ds_load_u16 v92, v12 offset:6000
	v_fmac_f16_e32 v63, v82, v43
	v_fmac_f16_e32 v65, v84, v44
	v_add_f16_e32 v40, v17, v72
	v_add_f16_e32 v44, v72, v34
	v_sub_f16_e32 v42, v81, v55
	v_sub_f16_e32 v43, v34, v73
	s_waitcnt vmcnt(0) lgkmcnt(0)
	s_barrier
	buffer_gl0_inv
	v_lshrrev_b32_e32 v33, 16, v45
	v_lshrrev_b32_e32 v35, 16, v46
	;; [unrolled: 1-line block ×3, first 2 shown]
	s_delay_alu instid0(VALU_DEP_3)
	v_mul_f16_e32 v36, v57, v33
	v_mul_f16_e32 v82, v58, v33
	v_lshrrev_b32_e32 v33, 16, v48
	v_mul_f16_e32 v38, v80, v35
	v_mul_f16_e32 v84, v62, v35
	;; [unrolled: 1-line block ×3, first 2 shown]
	v_fma_f16 v58, v58, v45, -v36
	v_fmac_f16_e32 v82, v57, v45
	v_fma_f16 v57, v62, v46, -v38
	v_mul_f16_e32 v62, v68, v37
	v_fmac_f16_e32 v84, v80, v46
	v_mul_f16_e32 v36, v85, v33
	v_fma_f16 v68, v68, v47, -v35
	v_mul_f16_e32 v80, v71, v33
	v_fmac_f16_e32 v62, v88, v47
	v_add_f16_e32 v47, v24, v81
	v_lshrrev_b32_e32 v33, 16, v50
	v_lshrrev_b32_e32 v35, 16, v51
	v_fma_f16 v71, v71, v48, -v36
	v_lshrrev_b32_e32 v36, 16, v52
	v_fmac_f16_e32 v80, v85, v48
	v_mul_f16_e32 v37, v87, v33
	v_mul_f16_e32 v39, v76, v33
	;; [unrolled: 1-line block ×4, first 2 shown]
	v_lshrrev_b32_e32 v35, 16, v53
	v_fma_f16 v49, v76, v50, -v37
	v_mul_f16_e32 v38, v90, v36
	v_fma_f16 v45, v74, v51, -v33
	v_add_f16_e32 v33, v75, v73
	v_mul_f16_e32 v46, v78, v36
	v_mul_f16_e32 v36, v92, v35
	v_fmac_f16_e32 v39, v87, v50
	v_fma_f16 v50, v78, v52, -v38
	v_fma_f16 v37, -0.5, v33, v17
	v_add_f16_e32 v33, v40, v75
	v_fmac_f16_e32 v46, v90, v52
	v_fma_f16 v52, v79, v53, -v36
	v_sub_f16_e32 v36, v89, v56
	v_sub_f16_e32 v40, v72, v75
	v_add_f16_e32 v33, v33, v73
	v_fmac_f16_e32 v17, -0.5, v44
	v_fmac_f16_e32 v41, v86, v51
	v_fmamk_f16 v38, v42, 0x3b9c, v37
	v_mul_f16_e32 v51, v79, v35
	v_add_f16_e32 v35, v40, v43
	v_add_f16_e32 v43, v33, v34
	v_fmac_f16_e32 v37, 0xbb9c, v42
	v_fmamk_f16 v44, v36, 0xbb9c, v17
	v_sub_f16_e32 v33, v75, v72
	v_sub_f16_e32 v40, v73, v34
	v_add_f16_e32 v48, v89, v56
	v_fmac_f16_e32 v17, 0x3b9c, v36
	v_fmac_f16_e32 v38, 0x38b4, v36
	;; [unrolled: 1-line block ×5, first 2 shown]
	v_add_f16_e32 v40, v33, v40
	v_add_f16_e32 v36, v47, v89
	v_fma_f16 v33, -0.5, v48, v24
	v_sub_f16_e32 v47, v72, v34
	v_fmac_f16_e32 v17, 0xb8b4, v42
	v_sub_f16_e32 v48, v81, v89
	v_sub_f16_e32 v53, v55, v56
	v_fmac_f16_e32 v38, 0x34f2, v35
	v_fmac_f16_e32 v37, 0x34f2, v35
	v_fmac_f16_e32 v44, 0x34f2, v40
	v_add_f16_e32 v35, v36, v56
	v_fmamk_f16 v34, v47, 0xbb9c, v33
	v_add_f16_e32 v36, v81, v55
	v_sub_f16_e32 v42, v75, v73
	v_fmac_f16_e32 v17, 0x34f2, v40
	v_add_f16_e32 v40, v48, v53
	v_fmac_f16_e32 v33, 0x3b9c, v47
	v_sub_f16_e32 v48, v89, v81
	v_sub_f16_e32 v53, v56, v55
	v_fmac_f16_e32 v24, -0.5, v36
	v_add_f16_e32 v35, v35, v55
	v_fmac_f16_e32 v34, 0xb8b4, v42
	v_add_f16_e32 v55, v59, v64
	v_fmac_f16_e32 v33, 0x38b4, v42
	v_add_f16_e32 v48, v48, v53
	v_add_f16_e32 v53, v16, v77
	v_fmamk_f16 v36, v42, 0x3b9c, v24
	v_fmac_f16_e32 v34, 0x34f2, v40
	v_fma_f16 v55, -0.5, v55, v16
	v_sub_f16_e32 v56, v91, v66
	v_fmac_f16_e32 v33, 0x34f2, v40
	v_fmac_f16_e32 v24, 0xbb9c, v42
	v_add_f16_e32 v40, v53, v59
	v_add_f16_e32 v74, v77, v69
	v_fmac_f16_e32 v36, 0xb8b4, v47
	v_fmamk_f16 v53, v56, 0x3b9c, v55
	v_sub_f16_e32 v42, v60, v93
	v_sub_f16_e32 v72, v77, v59
	;; [unrolled: 1-line block ×3, first 2 shown]
	v_fmac_f16_e32 v24, 0x38b4, v47
	v_add_f16_e32 v40, v40, v64
	v_fmac_f16_e32 v16, -0.5, v74
	v_fmac_f16_e32 v55, 0xbb9c, v56
	v_add_f16_e32 v74, v21, v91
	v_fmac_f16_e32 v36, 0x34f2, v48
	v_fmac_f16_e32 v53, 0x38b4, v42
	v_add_f16_e32 v47, v72, v73
	v_fmac_f16_e32 v24, 0x34f2, v48
	v_add_f16_e32 v72, v40, v69
	v_fmamk_f16 v73, v42, 0xbb9c, v16
	v_sub_f16_e32 v40, v59, v77
	v_sub_f16_e32 v48, v64, v69
	v_fmac_f16_e32 v55, 0xb8b4, v42
	v_add_f16_e32 v75, v60, v93
	v_fmac_f16_e32 v16, 0x3b9c, v42
	v_add_f16_e32 v42, v74, v60
	v_fmac_f16_e32 v53, 0x34f2, v47
	v_fmac_f16_e32 v73, 0x38b4, v56
	v_add_f16_e32 v48, v40, v48
	v_fma_f16 v40, -0.5, v75, v21
	v_sub_f16_e32 v69, v77, v69
	v_fmac_f16_e32 v55, 0x34f2, v47
	v_fmac_f16_e32 v16, 0xb8b4, v56
	v_add_f16_e32 v47, v42, v93
	v_add_f16_e32 v56, v91, v66
	v_sub_f16_e32 v59, v59, v64
	v_sub_f16_e32 v64, v91, v60
	;; [unrolled: 1-line block ×3, first 2 shown]
	v_fmamk_f16 v42, v69, 0xbb9c, v40
	v_fmac_f16_e32 v21, -0.5, v56
	v_add_f16_e32 v47, v47, v66
	v_fmac_f16_e32 v40, 0x3b9c, v69
	v_add_f16_e32 v56, v64, v74
	v_sub_f16_e32 v60, v60, v91
	v_sub_f16_e32 v64, v93, v66
	v_add_f16_e32 v66, v61, v67
	v_fmac_f16_e32 v73, 0x34f2, v48
	v_fmac_f16_e32 v16, 0x34f2, v48
	;; [unrolled: 1-line block ×3, first 2 shown]
	v_fmamk_f16 v48, v59, 0x3b9c, v21
	v_fmac_f16_e32 v40, 0x38b4, v59
	v_add_f16_e32 v60, v60, v64
	v_add_f16_e32 v64, v9, v54
	v_fma_f16 v66, -0.5, v66, v9
	v_sub_f16_e32 v74, v83, v65
	v_fmac_f16_e32 v21, 0xbb9c, v59
	v_add_f16_e32 v77, v54, v70
	v_fmac_f16_e32 v42, 0x34f2, v56
	v_fmac_f16_e32 v48, 0xb8b4, v69
	;; [unrolled: 1-line block ×3, first 2 shown]
	v_add_f16_e32 v56, v64, v61
	v_fmamk_f16 v59, v74, 0x3b9c, v66
	v_sub_f16_e32 v64, v94, v63
	v_sub_f16_e32 v75, v54, v61
	;; [unrolled: 1-line block ×3, first 2 shown]
	v_fmac_f16_e32 v21, 0x38b4, v69
	v_fmac_f16_e32 v9, -0.5, v77
	v_fmac_f16_e32 v66, 0xbb9c, v74
	v_add_f16_e32 v77, v20, v83
	v_fmac_f16_e32 v48, 0x34f2, v60
	v_add_f16_e32 v56, v56, v67
	v_fmac_f16_e32 v59, 0x38b4, v64
	v_add_f16_e32 v69, v75, v76
	v_fmac_f16_e32 v21, 0x34f2, v60
	v_fmamk_f16 v60, v64, 0xbb9c, v9
	v_sub_f16_e32 v75, v61, v54
	v_sub_f16_e32 v76, v67, v70
	v_fmac_f16_e32 v66, 0xb8b4, v64
	v_add_f16_e32 v78, v94, v63
	v_fmac_f16_e32 v9, 0x3b9c, v64
	v_add_f16_e32 v64, v77, v94
	v_add_f16_e32 v56, v56, v70
	v_fmac_f16_e32 v60, 0x38b4, v74
	v_add_f16_e32 v75, v75, v76
	v_fma_f16 v76, -0.5, v78, v20
	v_sub_f16_e32 v54, v54, v70
	v_fmac_f16_e32 v9, 0xb8b4, v74
	v_add_f16_e32 v64, v64, v63
	v_add_f16_e32 v70, v83, v65
	v_sub_f16_e32 v61, v61, v67
	v_sub_f16_e32 v67, v83, v94
	;; [unrolled: 1-line block ×3, first 2 shown]
	v_fmac_f16_e32 v59, 0x34f2, v69
	v_fmac_f16_e32 v66, 0x34f2, v69
	v_fmamk_f16 v69, v54, 0xbb9c, v76
	v_fmac_f16_e32 v20, -0.5, v70
	v_add_f16_e32 v64, v64, v65
	v_add_f16_e32 v67, v67, v74
	v_fmac_f16_e32 v76, 0x3b9c, v54
	v_sub_f16_e32 v74, v94, v83
	v_sub_f16_e32 v63, v63, v65
	v_add_f16_e32 v65, v57, v68
	v_fmac_f16_e32 v60, 0x34f2, v75
	v_fmac_f16_e32 v9, 0x34f2, v75
	;; [unrolled: 1-line block ×3, first 2 shown]
	v_fmamk_f16 v70, v61, 0x3b9c, v20
	v_fmac_f16_e32 v76, 0x38b4, v61
	v_add_f16_e32 v63, v74, v63
	v_add_f16_e32 v74, v8, v58
	v_fma_f16 v65, -0.5, v65, v8
	v_sub_f16_e32 v75, v82, v80
	v_fmac_f16_e32 v20, 0xbb9c, v61
	v_add_f16_e32 v79, v58, v71
	v_fmac_f16_e32 v69, 0x34f2, v67
	v_fmac_f16_e32 v70, 0xb8b4, v54
	;; [unrolled: 1-line block ×3, first 2 shown]
	v_add_f16_e32 v61, v74, v57
	v_fmamk_f16 v67, v75, 0x3b9c, v65
	v_sub_f16_e32 v74, v84, v62
	v_sub_f16_e32 v77, v58, v57
	;; [unrolled: 1-line block ×3, first 2 shown]
	v_fmac_f16_e32 v20, 0x38b4, v54
	v_fmac_f16_e32 v8, -0.5, v79
	v_fmac_f16_e32 v65, 0xbb9c, v75
	v_add_f16_e32 v79, v18, v82
	v_fmac_f16_e32 v70, 0x34f2, v63
	v_add_f16_e32 v54, v61, v68
	;; [unrolled: 2-line block ×3, first 2 shown]
	v_fmac_f16_e32 v20, 0x34f2, v63
	v_fmamk_f16 v63, v74, 0xbb9c, v8
	v_sub_f16_e32 v77, v57, v58
	v_sub_f16_e32 v78, v68, v71
	v_fmac_f16_e32 v65, 0xb8b4, v74
	v_add_f16_e32 v81, v84, v62
	v_fmac_f16_e32 v8, 0x3b9c, v74
	v_add_f16_e32 v74, v79, v84
	v_fmac_f16_e32 v67, 0x34f2, v61
	v_fmac_f16_e32 v63, 0x38b4, v75
	v_add_f16_e32 v77, v77, v78
	v_fma_f16 v78, -0.5, v81, v18
	v_sub_f16_e32 v58, v58, v71
	v_fmac_f16_e32 v65, 0x34f2, v61
	v_fmac_f16_e32 v8, 0xb8b4, v75
	v_add_f16_e32 v61, v74, v62
	v_add_f16_e32 v74, v82, v80
	v_sub_f16_e32 v57, v57, v68
	v_sub_f16_e32 v68, v82, v84
	;; [unrolled: 1-line block ×3, first 2 shown]
	v_add_f16_e32 v54, v54, v71
	v_fmac_f16_e32 v63, 0x34f2, v77
	v_fmamk_f16 v71, v58, 0xbb9c, v78
	v_fmac_f16_e32 v8, 0x34f2, v77
	v_fmac_f16_e32 v18, -0.5, v74
	v_add_f16_e32 v68, v68, v75
	v_fmac_f16_e32 v78, 0x3b9c, v58
	v_sub_f16_e32 v75, v84, v82
	v_sub_f16_e32 v62, v62, v80
	v_add_f16_e32 v77, v45, v50
	v_fmac_f16_e32 v71, 0xb8b4, v57
	v_fmamk_f16 v74, v57, 0x3b9c, v18
	v_fmac_f16_e32 v78, 0x38b4, v57
	v_add_f16_e32 v62, v75, v62
	v_add_f16_e32 v75, v10, v49
	v_fma_f16 v77, -0.5, v77, v10
	v_sub_f16_e32 v79, v39, v51
	v_fmac_f16_e32 v18, 0xbb9c, v57
	v_add_f16_e32 v82, v49, v52
	v_fmac_f16_e32 v71, 0x34f2, v68
	v_fmac_f16_e32 v74, 0xb8b4, v58
	;; [unrolled: 1-line block ×3, first 2 shown]
	v_add_f16_e32 v57, v75, v45
	v_fmamk_f16 v68, v79, 0x3b9c, v77
	v_sub_f16_e32 v75, v41, v46
	v_fmac_f16_e32 v18, 0x38b4, v58
	v_fmac_f16_e32 v10, -0.5, v82
	v_fmac_f16_e32 v77, 0xbb9c, v79
	v_add_f16_e32 v82, v19, v39
	v_add_f16_e32 v61, v61, v80
	v_sub_f16_e32 v80, v49, v45
	v_sub_f16_e32 v81, v52, v50
	v_fmac_f16_e32 v74, 0x34f2, v62
	v_add_f16_e32 v57, v57, v50
	v_fmac_f16_e32 v68, 0x38b4, v75
	v_fmac_f16_e32 v18, 0x34f2, v62
	v_fmamk_f16 v62, v75, 0xbb9c, v10
	v_fmac_f16_e32 v77, 0xb8b4, v75
	v_fmac_f16_e32 v10, 0x3b9c, v75
	v_add_f16_e32 v75, v82, v41
	v_add_f16_e32 v58, v80, v81
	v_sub_f16_e32 v80, v45, v49
	v_sub_f16_e32 v81, v50, v52
	ds_store_b16 v22, v43
	ds_store_b16 v22, v38 offset:10
	ds_store_b16 v22, v44 offset:20
	;; [unrolled: 1-line block ×4, first 2 shown]
	v_mul_u32_u24_e32 v17, 50, v28
	v_add_f16_e32 v83, v41, v46
	v_add_f16_e32 v57, v57, v52
	v_sub_f16_e32 v49, v49, v52
	v_add_f16_e32 v52, v75, v46
	v_add_f16_e32 v75, v39, v51
	v_fmac_f16_e32 v62, 0x38b4, v79
	v_add_f16_e32 v80, v80, v81
	v_fmac_f16_e32 v10, 0xb8b4, v79
	v_sub_f16_e32 v45, v45, v50
	v_sub_f16_e32 v50, v39, v41
	;; [unrolled: 1-line block ×3, first 2 shown]
	ds_store_b16 v23, v72
	ds_store_b16 v23, v53 offset:10
	ds_store_b16 v23, v73 offset:20
	;; [unrolled: 1-line block ×4, first 2 shown]
	v_add3_u32 v26, 0, v17, v26
	v_mul_u32_u24_e32 v16, 50, v30
	v_lshlrev_b32_e32 v17, 1, v31
	v_fma_f16 v81, -0.5, v83, v19
	v_fmac_f16_e32 v19, -0.5, v75
	v_fmac_f16_e32 v68, 0x34f2, v58
	v_fmac_f16_e32 v77, 0x34f2, v58
	;; [unrolled: 1-line block ×4, first 2 shown]
	v_add_f16_e32 v52, v52, v51
	v_add_f16_e32 v50, v50, v79
	v_sub_f16_e32 v39, v41, v39
	v_sub_f16_e32 v41, v46, v51
	ds_store_b16 v25, v56
	ds_store_b16 v25, v59 offset:10
	ds_store_b16 v25, v60 offset:20
	;; [unrolled: 1-line block ×4, first 2 shown]
	v_add3_u32 v27, 0, v16, v17
	ds_store_b16 v26, v54
	ds_store_b16 v26, v67 offset:10
	ds_store_b16 v26, v63 offset:20
	;; [unrolled: 1-line block ×4, first 2 shown]
	ds_store_b16 v27, v57
	ds_store_b16 v27, v68 offset:10
	ds_store_b16 v27, v62 offset:20
	;; [unrolled: 1-line block ×4, first 2 shown]
	s_waitcnt lgkmcnt(0)
	s_barrier
	buffer_gl0_inv
	ds_load_u16 v51, v12 offset:1500
	ds_load_u16 v53, v12 offset:1750
	ds_load_u16 v17, v12
	ds_load_u16 v16, v12 offset:250
	ds_load_u16 v9, v12 offset:500
	;; [unrolled: 1-line block ×22, first 2 shown]
	s_waitcnt lgkmcnt(0)
	s_barrier
	buffer_gl0_inv
	ds_store_b16 v22, v35
	ds_store_b16 v22, v34 offset:10
	ds_store_b16 v22, v36 offset:20
	;; [unrolled: 1-line block ×4, first 2 shown]
	ds_store_b16 v23, v47
	ds_store_b16 v23, v42 offset:10
	ds_store_b16 v23, v48 offset:20
	;; [unrolled: 1-line block ×4, first 2 shown]
	v_mul_lo_u16 v21, v7, 25
	v_fmamk_f16 v58, v49, 0xbb9c, v81
	v_fmamk_f16 v75, v45, 0x3b9c, v19
	v_fmac_f16_e32 v19, 0xbb9c, v45
	v_fmac_f16_e32 v81, 0x3b9c, v49
	ds_store_b16 v25, v64
	ds_store_b16 v25, v69 offset:10
	ds_store_b16 v25, v70 offset:20
	ds_store_b16 v25, v20 offset:30
	ds_store_b16 v25, v76 offset:40
	v_sub_nc_u16 v20, v6, v21
	v_fmac_f16_e32 v58, 0xb8b4, v45
	v_fmac_f16_e32 v75, 0xb8b4, v49
	v_add_f16_e32 v39, v39, v41
	v_fmac_f16_e32 v19, 0x38b4, v49
	v_fmac_f16_e32 v81, 0x38b4, v45
	ds_store_b16 v26, v61
	ds_store_b16 v26, v71 offset:10
	ds_store_b16 v26, v74 offset:20
	;; [unrolled: 1-line block ×4, first 2 shown]
	v_and_b32_e32 v18, 0xff, v20
	v_mul_u32_u24_e32 v20, 0x47af, v2
	v_fmac_f16_e32 v58, 0x34f2, v50
	v_fmac_f16_e32 v75, 0x34f2, v39
	;; [unrolled: 1-line block ×4, first 2 shown]
	ds_store_b16 v27, v52
	ds_store_b16 v27, v58 offset:10
	ds_store_b16 v27, v75 offset:20
	;; [unrolled: 1-line block ×4, first 2 shown]
	v_lshlrev_b32_e32 v19, 4, v18
	v_lshrrev_b32_e32 v20, 16, v20
	s_waitcnt lgkmcnt(0)
	s_barrier
	buffer_gl0_inv
	global_load_b128 v[31:34], v19, s[4:5] offset:80
	v_mul_lo_u16 v19, v3, 25
	v_sub_nc_u16 v21, v14, v20
	v_mul_u32_u24_e32 v22, 0x47af, v1
	v_and_b32_e32 v7, 0xffff, v7
	v_lshlrev_b32_e32 v18, 1, v18
	v_sub_nc_u16 v19, v13, v19
	v_lshrrev_b16 v21, 1, v21
	v_and_b32_e32 v3, 0xffff, v3
	v_mul_u32_u24_e32 v7, 0xfa, v7
	v_mul_u32_u24_e32 v2, 0x625, v2
	v_and_b32_e32 v19, 0xff, v19
	v_add_nc_u16 v20, v21, v20
	v_lshrrev_b32_e32 v21, 16, v22
	v_add3_u32 v7, 0, v7, v18
	v_mul_u32_u24_e32 v3, 0xfa, v3
	v_lshlrev_b32_e32 v22, 4, v19
	v_lshrrev_b16 v25, 4, v20
	v_sub_nc_u16 v20, v15, v21
	v_lshlrev_b32_e32 v18, 1, v19
	v_lshrrev_b32_e32 v2, 16, v2
	global_load_b128 v[35:38], v22, s[4:5] offset:80
	v_mul_lo_u16 v22, v25, 25
	v_lshrrev_b16 v20, 1, v20
	v_and_b32_e32 v25, 0xffff, v25
	v_mul_u32_u24_e32 v1, 0x625, v1
	s_delay_alu instid0(VALU_DEP_4) | instskip(NEXT) | instid1(VALU_DEP_4)
	v_sub_nc_u16 v22, v14, v22
	v_add_nc_u16 v20, v20, v21
	v_mul_u32_u24_e32 v21, 0x47af, v0
	v_mul_u32_u24_e32 v19, 0xfa, v25
	v_lshrrev_b32_e32 v1, 16, v1
	v_and_b32_e32 v30, 0xffff, v22
	v_lshrrev_b16 v29, 4, v20
	v_lshrrev_b32_e32 v20, 16, v21
	v_mul_u32_u24_e32 v0, 0x625, v0
	s_delay_alu instid0(VALU_DEP_4) | instskip(NEXT) | instid1(VALU_DEP_4)
	v_lshlrev_b32_e32 v21, 4, v30
	v_mul_lo_u16 v22, v29, 25
	s_delay_alu instid0(VALU_DEP_4)
	v_sub_nc_u16 v23, v11, v20
	v_and_b32_e32 v29, 0xffff, v29
	v_lshlrev_b32_e32 v25, 1, v30
	global_load_b128 v[39:42], v21, s[4:5] offset:80
	v_sub_nc_u16 v21, v15, v22
	v_lshrrev_b16 v22, 1, v23
	v_add3_u32 v30, 0, v3, v18
	v_mul_u32_u24_e32 v3, 0xfa, v29
	v_add3_u32 v25, 0, v19, v25
	v_and_b32_e32 v28, 0xffff, v21
	v_add_nc_u16 v20, v22, v20
	v_lshrrev_b32_e32 v0, 16, v0
	s_delay_alu instid0(VALU_DEP_3) | instskip(NEXT) | instid1(VALU_DEP_3)
	v_lshlrev_b32_e32 v21, 4, v28
	v_lshrrev_b16 v27, 4, v20
	global_load_b128 v[43:46], v21, s[4:5] offset:80
	v_mul_lo_u16 v20, v27, 25
	v_and_b32_e32 v18, 0xffff, v27
	s_delay_alu instid0(VALU_DEP_2) | instskip(NEXT) | instid1(VALU_DEP_1)
	v_sub_nc_u16 v20, v11, v20
	v_and_b32_e32 v26, 0xffff, v20
	s_delay_alu instid0(VALU_DEP_1)
	v_lshlrev_b32_e32 v20, 4, v26
	global_load_b128 v[47:50], v20, s[4:5] offset:80
	ds_load_u16 v52, v12 offset:1250
	ds_load_u16 v58, v12 offset:2500
	;; [unrolled: 1-line block ×5, first 2 shown]
	ds_load_u16 v24, v12
	ds_load_u16 v23, v12 offset:250
	ds_load_u16 v22, v12 offset:500
	ds_load_u16 v20, v12 offset:750
	ds_load_u16 v70, v12 offset:2000
	ds_load_u16 v71, v12 offset:2750
	ds_load_u16 v74, v12 offset:3000
	ds_load_u16 v75, v12 offset:3250
	ds_load_u16 v78, v12 offset:5000
	ds_load_u16 v81, v12 offset:5250
	ds_load_u16 v83, v12 offset:5500
	ds_load_u16 v84, v12 offset:5750
	ds_load_u16 v21, v12 offset:1000
	ds_load_u16 v85, v12 offset:3500
	ds_load_u16 v87, v12 offset:2250
	ds_load_u16 v89, v12 offset:4750
	s_waitcnt vmcnt(4)
	v_lshrrev_b32_e32 v76, 16, v31
	v_lshrrev_b32_e32 v88, 16, v32
	;; [unrolled: 1-line block ×4, first 2 shown]
	s_waitcnt lgkmcnt(20)
	v_mul_f16_e32 v86, v52, v76
	s_waitcnt lgkmcnt(18)
	v_mul_f16_e32 v91, v61, v90
	s_delay_alu instid0(VALU_DEP_2) | instskip(SKIP_3) | instid1(VALU_DEP_3)
	v_fma_f16 v86, v67, v31, -v86
	v_mul_f16_e32 v67, v67, v76
	v_mul_f16_e32 v76, v58, v88
	;; [unrolled: 1-line block ×3, first 2 shown]
	v_fmac_f16_e32 v67, v52, v31
	ds_load_u16 v31, v12 offset:4000
	v_fmac_f16_e32 v88, v58, v32
	v_fma_f16 v58, v68, v33, -v91
	v_mul_f16_e32 v68, v68, v90
	v_fma_f16 v52, v73, v32, -v76
	s_waitcnt lgkmcnt(8)
	v_mul_f16_e32 v32, v78, v92
	v_mul_f16_e32 v90, v79, v92
	ds_load_u16 v73, v12 offset:4250
	ds_load_u16 v76, v12 offset:4500
	v_fmac_f16_e32 v68, v61, v33
	s_waitcnt vmcnt(3)
	v_lshrrev_b32_e32 v33, 16, v35
	v_fma_f16 v32, v79, v34, -v32
	v_fmac_f16_e32 v90, v78, v34
	v_lshrrev_b32_e32 v34, 16, v36
	v_lshrrev_b32_e32 v79, 16, v37
	v_mul_f16_e32 v78, v64, v33
	v_mul_f16_e32 v91, v51, v33
	v_lshrrev_b32_e32 v33, 16, v38
	v_mul_f16_e32 v92, v71, v34
	ds_load_u16 v61, v12 offset:6000
	v_fma_f16 v51, v51, v35, -v78
	v_mul_f16_e32 v78, v55, v34
	v_fmac_f16_e32 v91, v64, v35
	v_mul_f16_e32 v64, v59, v79
	s_waitcnt lgkmcnt(3)
	v_mul_f16_e32 v34, v31, v79
	v_mul_f16_e32 v35, v81, v33
	v_fmac_f16_e32 v78, v71, v36
	v_mul_f16_e32 v71, v63, v33
	v_fmac_f16_e32 v64, v31, v37
	s_waitcnt vmcnt(2)
	v_lshrrev_b32_e32 v31, 16, v39
	v_lshrrev_b32_e32 v33, 16, v40
	v_fma_f16 v55, v55, v36, -v92
	v_fma_f16 v59, v59, v37, -v34
	;; [unrolled: 1-line block ×3, first 2 shown]
	v_lshrrev_b32_e32 v34, 16, v41
	v_mul_f16_e32 v35, v69, v31
	v_mul_f16_e32 v79, v53, v31
	;; [unrolled: 1-line block ×3, first 2 shown]
	v_lshrrev_b32_e32 v36, 16, v42
	v_fmac_f16_e32 v71, v81, v38
	v_mul_f16_e32 v81, v56, v33
	v_fma_f16 v53, v53, v39, -v35
	v_fma_f16 v56, v56, v40, -v31
	s_waitcnt lgkmcnt(2)
	v_mul_f16_e32 v31, v73, v34
	v_mul_f16_e32 v33, v83, v36
	v_fmac_f16_e32 v79, v69, v39
	v_fmac_f16_e32 v81, v74, v40
	v_mul_f16_e32 v69, v60, v34
	v_mul_f16_e32 v74, v65, v36
	v_fma_f16 v60, v60, v41, -v31
	s_waitcnt vmcnt(1)
	v_lshrrev_b32_e32 v31, 16, v43
	v_fma_f16 v65, v65, v42, -v33
	v_lshrrev_b32_e32 v33, 16, v44
	v_lshrrev_b32_e32 v35, 16, v45
	v_fmac_f16_e32 v69, v73, v41
	v_fmac_f16_e32 v74, v83, v42
	v_mul_f16_e32 v34, v70, v31
	v_mul_f16_e32 v73, v54, v31
	v_lshrrev_b32_e32 v31, 16, v46
	v_mul_f16_e32 v36, v75, v33
	v_mul_f16_e32 v83, v57, v33
	s_waitcnt lgkmcnt(1)
	v_mul_f16_e32 v33, v76, v35
	v_fma_f16 v54, v54, v43, -v34
	v_fmac_f16_e32 v73, v70, v43
	v_mul_f16_e32 v70, v62, v35
	v_fmac_f16_e32 v83, v75, v44
	v_mul_f16_e32 v34, v84, v31
	v_fma_f16 v62, v62, v45, -v33
	v_mul_f16_e32 v75, v66, v31
	s_waitcnt vmcnt(0)
	v_lshrrev_b32_e32 v31, 16, v47
	v_lshrrev_b32_e32 v33, 16, v48
	v_fma_f16 v57, v57, v44, -v36
	v_fma_f16 v66, v66, v46, -v34
	v_lshrrev_b32_e32 v34, 16, v49
	v_mul_f16_e32 v35, v87, v31
	v_mul_f16_e32 v37, v77, v31
	;; [unrolled: 1-line block ×4, first 2 shown]
	v_lshrrev_b32_e32 v38, 16, v50
	v_add_f16_e32 v36, v17, v86
	v_fma_f16 v43, v77, v47, -v35
	v_fma_f16 v41, v72, v48, -v31
	v_add_f16_e32 v31, v52, v58
	v_fmac_f16_e32 v39, v85, v48
	v_mul_f16_e32 v35, v89, v34
	v_mul_f16_e32 v42, v80, v34
	s_waitcnt lgkmcnt(0)
	v_mul_f16_e32 v34, v61, v38
	v_fma_f16 v33, -0.5, v31, v17
	v_add_f16_e32 v31, v36, v52
	v_add_f16_e32 v48, v86, v32
	v_fmac_f16_e32 v70, v76, v45
	v_fmac_f16_e32 v75, v84, v46
	;; [unrolled: 1-line block ×3, first 2 shown]
	v_sub_f16_e32 v45, v67, v90
	v_fma_f16 v44, v80, v49, -v35
	v_fma_f16 v47, v82, v50, -v34
	v_sub_f16_e32 v34, v88, v68
	v_sub_f16_e32 v35, v86, v52
	;; [unrolled: 1-line block ×3, first 2 shown]
	v_mul_f16_e32 v46, v82, v38
	v_add_f16_e32 v31, v31, v58
	v_fmac_f16_e32 v17, -0.5, v48
	v_fmamk_f16 v36, v45, 0x3b9c, v33
	v_add_f16_e32 v35, v35, v40
	v_fmac_f16_e32 v46, v61, v50
	v_add_f16_e32 v38, v31, v32
	v_fmac_f16_e32 v33, 0xbb9c, v45
	v_fmamk_f16 v40, v34, 0xbb9c, v17
	v_sub_f16_e32 v31, v52, v86
	v_sub_f16_e32 v48, v58, v32
	v_add_f16_e32 v50, v88, v68
	v_fmac_f16_e32 v17, 0x3b9c, v34
	v_fmac_f16_e32 v42, v89, v49
	;; [unrolled: 1-line block ×4, first 2 shown]
	v_add_f16_e32 v49, v24, v67
	v_fmac_f16_e32 v40, 0x38b4, v45
	v_add_f16_e32 v48, v31, v48
	v_fma_f16 v31, -0.5, v50, v24
	v_fmac_f16_e32 v17, 0xb8b4, v45
	v_sub_f16_e32 v45, v52, v58
	v_sub_f16_e32 v50, v67, v88
	;; [unrolled: 1-line block ×3, first 2 shown]
	v_fmac_f16_e32 v36, 0x34f2, v35
	v_add_f16_e32 v34, v49, v88
	v_sub_f16_e32 v49, v86, v32
	v_fmac_f16_e32 v33, 0x34f2, v35
	v_fmac_f16_e32 v40, 0x34f2, v48
	v_add_f16_e32 v35, v67, v90
	v_fmac_f16_e32 v17, 0x34f2, v48
	v_add_f16_e32 v48, v50, v52
	v_sub_f16_e32 v50, v88, v67
	v_sub_f16_e32 v52, v68, v90
	v_fmamk_f16 v32, v49, 0xbb9c, v31
	v_fmac_f16_e32 v24, -0.5, v35
	v_fmac_f16_e32 v31, 0x3b9c, v49
	v_add_f16_e32 v58, v55, v59
	v_add_f16_e32 v50, v50, v52
	;; [unrolled: 1-line block ×5, first 2 shown]
	v_fmac_f16_e32 v32, 0xb8b4, v45
	v_fmamk_f16 v35, v45, 0x3b9c, v24
	v_fmac_f16_e32 v31, 0x38b4, v45
	v_fma_f16 v58, -0.5, v58, v16
	v_sub_f16_e32 v61, v91, v71
	v_fmac_f16_e32 v24, 0xbb9c, v45
	v_add_f16_e32 v45, v52, v55
	v_sub_f16_e32 v52, v78, v64
	v_sub_f16_e32 v67, v51, v55
	;; [unrolled: 1-line block ×3, first 2 shown]
	v_fmac_f16_e32 v16, -0.5, v72
	v_fmac_f16_e32 v32, 0x34f2, v48
	v_fmac_f16_e32 v35, 0xb8b4, v49
	;; [unrolled: 1-line block ×3, first 2 shown]
	v_fmamk_f16 v48, v61, 0x3b9c, v58
	v_fmac_f16_e32 v24, 0x38b4, v49
	v_add_f16_e32 v45, v45, v59
	v_add_f16_e32 v49, v67, v68
	v_fmac_f16_e32 v58, 0xbb9c, v61
	v_fmamk_f16 v67, v52, 0xbb9c, v16
	v_add_f16_e32 v72, v23, v91
	v_fmac_f16_e32 v16, 0x3b9c, v52
	v_fmac_f16_e32 v35, 0x34f2, v50
	;; [unrolled: 1-line block ×4, first 2 shown]
	v_add_f16_e32 v50, v45, v63
	v_sub_f16_e32 v45, v55, v51
	v_sub_f16_e32 v68, v59, v63
	v_fmac_f16_e32 v58, 0xb8b4, v52
	v_add_f16_e32 v76, v78, v64
	v_fmac_f16_e32 v67, 0x38b4, v61
	v_add_f16_e32 v52, v72, v78
	v_sub_f16_e32 v51, v51, v63
	v_fmac_f16_e32 v16, 0xb8b4, v61
	v_add_f16_e32 v61, v91, v71
	v_sub_f16_e32 v55, v55, v59
	v_sub_f16_e32 v59, v91, v78
	v_sub_f16_e32 v63, v71, v64
	v_fmac_f16_e32 v48, 0x34f2, v49
	v_add_f16_e32 v68, v45, v68
	v_fma_f16 v45, -0.5, v76, v23
	v_fmac_f16_e32 v58, 0x34f2, v49
	v_add_f16_e32 v49, v52, v64
	v_fmac_f16_e32 v23, -0.5, v61
	v_add_f16_e32 v59, v59, v63
	v_sub_f16_e32 v63, v78, v91
	v_sub_f16_e32 v64, v64, v71
	v_fmac_f16_e32 v67, 0x34f2, v68
	v_fmamk_f16 v52, v51, 0xbb9c, v45
	v_fmac_f16_e32 v16, 0x34f2, v68
	v_fmac_f16_e32 v45, 0x3b9c, v51
	v_fmamk_f16 v61, v55, 0x3b9c, v23
	v_add_f16_e32 v68, v56, v60
	v_add_f16_e32 v63, v63, v64
	;; [unrolled: 1-line block ×3, first 2 shown]
	v_fmac_f16_e32 v23, 0xbb9c, v55
	v_add_f16_e32 v77, v53, v65
	v_add_f16_e32 v49, v49, v71
	v_fmac_f16_e32 v52, 0xb8b4, v55
	v_fmac_f16_e32 v45, 0x38b4, v55
	v_fmac_f16_e32 v61, 0xb8b4, v51
	v_fma_f16 v68, -0.5, v68, v9
	v_sub_f16_e32 v71, v79, v74
	v_add_f16_e32 v55, v64, v56
	v_sub_f16_e32 v64, v81, v69
	v_sub_f16_e32 v72, v53, v56
	;; [unrolled: 1-line block ×3, first 2 shown]
	v_fmac_f16_e32 v23, 0x38b4, v51
	v_fmac_f16_e32 v9, -0.5, v77
	v_fmac_f16_e32 v52, 0x34f2, v59
	v_fmac_f16_e32 v45, 0x34f2, v59
	;; [unrolled: 1-line block ×3, first 2 shown]
	v_fmamk_f16 v59, v71, 0x3b9c, v68
	v_add_f16_e32 v51, v55, v60
	v_add_f16_e32 v55, v72, v76
	v_fmac_f16_e32 v23, 0x34f2, v63
	v_fmac_f16_e32 v68, 0xbb9c, v71
	v_fmamk_f16 v63, v64, 0xbb9c, v9
	v_sub_f16_e32 v72, v56, v53
	v_sub_f16_e32 v76, v60, v65
	v_add_f16_e32 v77, v22, v79
	v_add_f16_e32 v78, v81, v69
	v_fmac_f16_e32 v9, 0x3b9c, v64
	v_fmac_f16_e32 v59, 0x38b4, v64
	v_add_f16_e32 v51, v51, v65
	v_fmac_f16_e32 v68, 0xb8b4, v64
	v_fmac_f16_e32 v63, 0x38b4, v71
	v_add_f16_e32 v72, v72, v76
	v_add_f16_e32 v64, v77, v81
	v_fma_f16 v76, -0.5, v78, v22
	v_sub_f16_e32 v53, v53, v65
	v_fmac_f16_e32 v9, 0xb8b4, v71
	v_add_f16_e32 v65, v79, v74
	v_sub_f16_e32 v56, v56, v60
	v_sub_f16_e32 v60, v79, v81
	;; [unrolled: 1-line block ×3, first 2 shown]
	v_fmac_f16_e32 v59, 0x34f2, v55
	v_fmac_f16_e32 v68, 0x34f2, v55
	;; [unrolled: 1-line block ×3, first 2 shown]
	v_add_f16_e32 v55, v64, v69
	v_fmamk_f16 v64, v53, 0xbb9c, v76
	v_fmac_f16_e32 v9, 0x34f2, v72
	v_fmac_f16_e32 v22, -0.5, v65
	v_add_f16_e32 v60, v60, v71
	v_fmac_f16_e32 v76, 0x3b9c, v53
	v_sub_f16_e32 v71, v81, v79
	v_sub_f16_e32 v69, v69, v74
	v_add_f16_e32 v72, v57, v62
	v_add_f16_e32 v55, v55, v74
	v_fmac_f16_e32 v64, 0xb8b4, v56
	v_fmamk_f16 v65, v56, 0x3b9c, v22
	v_fmac_f16_e32 v76, 0x38b4, v56
	v_add_f16_e32 v69, v71, v69
	v_add_f16_e32 v71, v8, v54
	v_fma_f16 v72, -0.5, v72, v8
	v_sub_f16_e32 v74, v73, v75
	v_fmac_f16_e32 v22, 0xbb9c, v56
	v_add_f16_e32 v79, v54, v66
	v_fmac_f16_e32 v64, 0x34f2, v60
	v_fmac_f16_e32 v65, 0xb8b4, v53
	;; [unrolled: 1-line block ×3, first 2 shown]
	v_add_f16_e32 v56, v71, v57
	v_fmamk_f16 v60, v74, 0x3b9c, v72
	v_sub_f16_e32 v71, v83, v70
	v_sub_f16_e32 v77, v54, v57
	;; [unrolled: 1-line block ×3, first 2 shown]
	v_fmac_f16_e32 v22, 0x38b4, v53
	v_fmac_f16_e32 v8, -0.5, v79
	v_fmac_f16_e32 v72, 0xbb9c, v74
	v_add_f16_e32 v79, v20, v73
	v_fmac_f16_e32 v65, 0x34f2, v69
	v_add_f16_e32 v53, v56, v62
	;; [unrolled: 2-line block ×3, first 2 shown]
	v_fmac_f16_e32 v22, 0x34f2, v69
	v_fmamk_f16 v69, v71, 0xbb9c, v8
	v_sub_f16_e32 v77, v57, v54
	v_sub_f16_e32 v78, v62, v66
	v_fmac_f16_e32 v72, 0xb8b4, v71
	v_add_f16_e32 v80, v83, v70
	v_fmac_f16_e32 v8, 0x3b9c, v71
	v_add_f16_e32 v71, v79, v83
	v_fmac_f16_e32 v60, 0x34f2, v56
	v_fmac_f16_e32 v69, 0x38b4, v74
	v_add_f16_e32 v77, v77, v78
	v_fma_f16 v78, -0.5, v80, v20
	v_sub_f16_e32 v54, v54, v66
	v_fmac_f16_e32 v72, 0x34f2, v56
	v_fmac_f16_e32 v8, 0xb8b4, v74
	v_add_f16_e32 v56, v71, v70
	v_add_f16_e32 v71, v73, v75
	v_sub_f16_e32 v57, v57, v62
	v_sub_f16_e32 v62, v73, v83
	;; [unrolled: 1-line block ×3, first 2 shown]
	v_add_f16_e32 v53, v53, v66
	v_fmamk_f16 v66, v54, 0xbb9c, v78
	v_fmac_f16_e32 v20, -0.5, v71
	v_fmac_f16_e32 v78, 0x3b9c, v54
	v_add_f16_e32 v62, v62, v74
	v_sub_f16_e32 v73, v83, v73
	v_sub_f16_e32 v70, v70, v75
	v_add_f16_e32 v74, v41, v44
	v_fmac_f16_e32 v66, 0xb8b4, v57
	v_fmamk_f16 v71, v57, 0x3b9c, v20
	v_fmac_f16_e32 v78, 0x38b4, v57
	v_add_f16_e32 v70, v73, v70
	v_fmac_f16_e32 v20, 0xbb9c, v57
	v_add_f16_e32 v57, v10, v43
	v_fma_f16 v73, -0.5, v74, v10
	v_sub_f16_e32 v74, v37, v46
	v_fmac_f16_e32 v69, 0x34f2, v77
	v_fmac_f16_e32 v8, 0x34f2, v77
	v_add_f16_e32 v56, v56, v75
	v_fmac_f16_e32 v66, 0x34f2, v62
	v_fmac_f16_e32 v71, 0xb8b4, v54
	;; [unrolled: 1-line block ×4, first 2 shown]
	v_add_f16_e32 v54, v57, v41
	v_fmamk_f16 v57, v74, 0x3b9c, v73
	v_sub_f16_e32 v62, v39, v42
	v_sub_f16_e32 v75, v43, v41
	;; [unrolled: 1-line block ×3, first 2 shown]
	v_fmac_f16_e32 v73, 0xbb9c, v74
	v_add_f16_e32 v79, v43, v47
	v_fmac_f16_e32 v57, 0x38b4, v62
	v_fmac_f16_e32 v71, 0x34f2, v70
	v_add_f16_e32 v75, v75, v77
	v_fmac_f16_e32 v73, 0xb8b4, v62
	v_fmac_f16_e32 v10, -0.5, v79
	v_add_f16_e32 v54, v54, v44
	v_fmac_f16_e32 v20, 0x34f2, v70
	v_fmac_f16_e32 v57, 0x34f2, v75
	;; [unrolled: 1-line block ×3, first 2 shown]
	v_add_f16_e32 v75, v21, v37
	v_fmamk_f16 v70, v62, 0xbb9c, v10
	v_add_f16_e32 v77, v39, v42
	v_sub_f16_e32 v79, v41, v43
	v_sub_f16_e32 v80, v44, v47
	v_fmac_f16_e32 v10, 0x3b9c, v62
	v_add_f16_e32 v62, v75, v39
	v_add_f16_e32 v54, v54, v47
	v_fma_f16 v75, -0.5, v77, v21
	v_sub_f16_e32 v43, v43, v47
	v_fmac_f16_e32 v70, 0x38b4, v74
	v_add_f16_e32 v47, v79, v80
	v_fmac_f16_e32 v10, 0xb8b4, v74
	v_add_f16_e32 v62, v62, v42
	v_add_f16_e32 v77, v37, v46
	v_fmamk_f16 v74, v43, 0xbb9c, v75
	v_sub_f16_e32 v41, v41, v44
	v_fmac_f16_e32 v70, 0x34f2, v47
	v_fmac_f16_e32 v10, 0x34f2, v47
	v_add_f16_e32 v44, v62, v46
	v_fmac_f16_e32 v21, -0.5, v77
	v_sub_f16_e32 v47, v37, v39
	v_sub_f16_e32 v62, v46, v42
	v_fmac_f16_e32 v75, 0x3b9c, v43
	s_barrier
	buffer_gl0_inv
	ds_store_b16 v7, v38
	ds_store_b16 v7, v36 offset:50
	ds_store_b16 v7, v40 offset:100
	;; [unrolled: 1-line block ×4, first 2 shown]
	v_lshlrev_b32_e32 v17, 1, v28
	v_add_f16_e32 v34, v34, v90
	v_fmac_f16_e32 v74, 0xb8b4, v41
	v_fmamk_f16 v77, v41, 0x3b9c, v21
	v_sub_f16_e32 v37, v39, v37
	v_sub_f16_e32 v39, v42, v46
	v_fmac_f16_e32 v21, 0xbb9c, v41
	v_add_f16_e32 v42, v47, v62
	v_fmac_f16_e32 v75, 0x38b4, v41
	ds_store_b16 v30, v50
	ds_store_b16 v30, v48 offset:50
	ds_store_b16 v30, v67 offset:100
	ds_store_b16 v30, v16 offset:150
	ds_store_b16 v30, v58 offset:200
	v_add3_u32 v27, 0, v3, v17
	v_mul_u32_u24_e32 v3, 0xfa, v18
	v_lshlrev_b32_e32 v16, 1, v26
	v_fmac_f16_e32 v77, 0xb8b4, v43
	v_fmac_f16_e32 v21, 0x38b4, v43
	;; [unrolled: 1-line block ×4, first 2 shown]
	ds_store_b16 v25, v51
	ds_store_b16 v25, v59 offset:50
	ds_store_b16 v25, v63 offset:100
	;; [unrolled: 1-line block ×4, first 2 shown]
	v_add3_u32 v26, 0, v3, v16
	ds_store_b16 v27, v53
	ds_store_b16 v27, v60 offset:50
	ds_store_b16 v27, v69 offset:100
	;; [unrolled: 1-line block ×4, first 2 shown]
	ds_store_b16 v26, v54
	ds_store_b16 v26, v57 offset:50
	ds_store_b16 v26, v70 offset:100
	;; [unrolled: 1-line block ×4, first 2 shown]
	s_waitcnt lgkmcnt(0)
	s_barrier
	buffer_gl0_inv
	ds_load_u16 v40, v12 offset:1500
	ds_load_u16 v41, v12 offset:1750
	ds_load_u16 v19, v12
	ds_load_u16 v18, v12 offset:250
	ds_load_u16 v16, v12 offset:500
	;; [unrolled: 1-line block ×22, first 2 shown]
	s_waitcnt lgkmcnt(0)
	s_barrier
	buffer_gl0_inv
	ds_store_b16 v7, v34
	ds_store_b16 v7, v32 offset:50
	ds_store_b16 v7, v35 offset:100
	ds_store_b16 v7, v24 offset:150
	ds_store_b16 v7, v31 offset:200
	ds_store_b16 v30, v49
	ds_store_b16 v30, v52 offset:50
	ds_store_b16 v30, v61 offset:100
	ds_store_b16 v30, v23 offset:150
	ds_store_b16 v30, v45 offset:200
	;; [unrolled: 5-line block ×3, first 2 shown]
	v_dual_mov_b32 v8, 0 :: v_dual_lshlrev_b32 v7, 2, v6
	v_add_f16_e32 v37, v37, v39
	ds_store_b16 v27, v56
	ds_store_b16 v27, v66 offset:50
	ds_store_b16 v27, v71 offset:100
	;; [unrolled: 1-line block ×4, first 2 shown]
	v_lshlrev_b64 v[9:10], 2, v[7:8]
	v_sub_nc_u16 v7, v14, v2
	v_fmac_f16_e32 v77, 0x34f2, v37
	v_fmac_f16_e32 v21, 0x34f2, v37
	ds_store_b16 v26, v44
	ds_store_b16 v26, v74 offset:50
	ds_store_b16 v26, v77 offset:100
	ds_store_b16 v26, v21 offset:150
	ds_store_b16 v26, v75 offset:200
	v_lshrrev_b16 v7, 1, v7
	v_add_co_u32 v9, s0, s4, v9
	s_delay_alu instid0(VALU_DEP_1) | instskip(NEXT) | instid1(VALU_DEP_3)
	v_add_co_ci_u32_e64 v10, s0, s5, v10, s0
	v_add_nc_u16 v2, v7, v2
	s_waitcnt lgkmcnt(0)
	s_barrier
	buffer_gl0_inv
	global_load_b128 v[24:27], v[9:10], off offset:480
	v_lshrrev_b16 v2, 6, v2
	v_sub_nc_u16 v7, v15, v1
	s_delay_alu instid0(VALU_DEP_2) | instskip(NEXT) | instid1(VALU_DEP_2)
	v_mul_lo_u16 v2, 0x7d, v2
	v_lshrrev_b16 v7, 1, v7
	s_delay_alu instid0(VALU_DEP_2) | instskip(NEXT) | instid1(VALU_DEP_2)
	v_sub_nc_u16 v2, v14, v2
	v_add_nc_u16 v1, v7, v1
	s_delay_alu instid0(VALU_DEP_2) | instskip(NEXT) | instid1(VALU_DEP_2)
	v_and_b32_e32 v20, 0xffff, v2
	v_lshrrev_b16 v1, 6, v1
	s_delay_alu instid0(VALU_DEP_2) | instskip(NEXT) | instid1(VALU_DEP_2)
	v_lshlrev_b32_e32 v2, 4, v20
	v_mul_lo_u16 v1, 0x7d, v1
	global_load_b128 v[28:31], v2, s[4:5] offset:480
	v_sub_nc_u16 v2, v11, v0
	v_sub_nc_u16 v1, v15, v1
	s_delay_alu instid0(VALU_DEP_2) | instskip(NEXT) | instid1(VALU_DEP_2)
	v_lshrrev_b16 v2, 1, v2
	v_and_b32_e32 v21, 0xffff, v1
	s_delay_alu instid0(VALU_DEP_2) | instskip(NEXT) | instid1(VALU_DEP_2)
	v_add_nc_u16 v0, v2, v0
	v_lshlrev_b32_e32 v1, 4, v21
	s_delay_alu instid0(VALU_DEP_2) | instskip(SKIP_2) | instid1(VALU_DEP_1)
	v_lshrrev_b16 v0, 6, v0
	global_load_b128 v[32:35], v1, s[4:5] offset:480
	v_mul_lo_u16 v0, 0x7d, v0
	v_sub_nc_u16 v0, v11, v0
	s_delay_alu instid0(VALU_DEP_1) | instskip(NEXT) | instid1(VALU_DEP_1)
	v_and_b32_e32 v22, 0xffff, v0
	v_lshlrev_b32_e32 v0, 4, v22
	global_load_b128 v[36:39], v0, s[4:5] offset:480
	ds_load_u16 v44, v12 offset:3750
	ds_load_u16 v45, v12 offset:1250
	ds_load_u16 v49, v12 offset:1500
	ds_load_u16 v52, v12 offset:1750
	ds_load_u16 v23, v12
	ds_load_u16 v2, v12 offset:250
	ds_load_u16 v1, v12 offset:500
	;; [unrolled: 1-line block ×20, first 2 shown]
	s_waitcnt vmcnt(0) lgkmcnt(0)
	s_barrier
	buffer_gl0_inv
	v_lshrrev_b32_e32 v77, 16, v24
	v_lshrrev_b32_e32 v81, 16, v25
	;; [unrolled: 1-line block ×4, first 2 shown]
	s_delay_alu instid0(VALU_DEP_4) | instskip(SKIP_2) | instid1(VALU_DEP_3)
	v_mul_f16_e32 v82, v45, v77
	v_mul_f16_e32 v84, v58, v77
	;; [unrolled: 1-line block ×3, first 2 shown]
	v_fma_f16 v58, v58, v24, -v82
	v_mul_f16_e32 v82, v62, v81
	s_delay_alu instid0(VALU_DEP_4)
	v_fmac_f16_e32 v84, v45, v24
	v_mul_f16_e32 v45, v44, v83
	v_fma_f16 v62, v62, v25, -v86
	v_mul_f16_e32 v86, v59, v83
	v_fmac_f16_e32 v82, v56, v25
	v_mul_f16_e32 v56, v72, v85
	v_fma_f16 v45, v59, v26, -v45
	v_mul_f16_e32 v59, v67, v85
	;; [unrolled: 4-line block ×3, first 2 shown]
	v_fmac_f16_e32 v59, v72, v27
	v_mul_f16_e32 v72, v61, v81
	v_mul_f16_e32 v77, v43, v81
	v_fma_f16 v40, v40, v24, -v44
	v_fmac_f16_e32 v67, v49, v24
	v_mul_f16_e32 v24, v66, v83
	v_fma_f16 v49, v43, v25, -v72
	v_fmac_f16_e32 v77, v61, v25
	v_mul_f16_e32 v25, v73, v85
	v_mul_f16_e32 v72, v48, v83
	v_fma_f16 v48, v48, v26, -v24
	v_mul_f16_e32 v61, v53, v85
	v_lshrrev_b32_e32 v24, 16, v28
	v_fma_f16 v53, v53, v27, -v25
	v_lshrrev_b32_e32 v25, 16, v29
	v_fmac_f16_e32 v72, v66, v26
	v_fmac_f16_e32 v61, v73, v27
	v_lshrrev_b32_e32 v26, 16, v30
	v_mul_f16_e32 v27, v52, v24
	v_mul_f16_e32 v66, v41, v24
	;; [unrolled: 1-line block ×3, first 2 shown]
	v_lshrrev_b32_e32 v43, 16, v31
	v_mul_f16_e32 v73, v46, v25
	v_fma_f16 v41, v41, v28, -v27
	v_fmac_f16_e32 v66, v52, v28
	v_fma_f16 v46, v46, v29, -v24
	v_mul_f16_e32 v24, v70, v26
	v_mul_f16_e32 v25, v74, v43
	v_fmac_f16_e32 v73, v64, v29
	v_mul_f16_e32 v52, v50, v26
	v_mul_f16_e32 v64, v54, v43
	v_fma_f16 v50, v50, v30, -v24
	v_lshrrev_b32_e32 v24, 16, v32
	v_fma_f16 v54, v54, v31, -v25
	v_lshrrev_b32_e32 v25, 16, v33
	v_fmac_f16_e32 v52, v70, v30
	v_fmac_f16_e32 v64, v74, v31
	v_mul_f16_e32 v26, v55, v24
	v_mul_f16_e32 v70, v42, v24
	v_lshrrev_b32_e32 v24, 16, v35
	v_mul_f16_e32 v81, v47, v25
	v_lshrrev_b32_e32 v27, 16, v34
	v_mul_f16_e32 v28, v65, v25
	v_fma_f16 v74, v42, v32, -v26
	v_mul_f16_e32 v26, v75, v24
	v_fmac_f16_e32 v81, v65, v33
	v_mul_f16_e32 v65, v57, v24
	v_lshrrev_b32_e32 v24, 16, v36
	v_fmac_f16_e32 v70, v55, v32
	v_mul_f16_e32 v25, v71, v27
	v_mul_f16_e32 v55, v51, v27
	v_fma_f16 v47, v47, v33, -v28
	v_mul_f16_e32 v27, v78, v24
	v_fma_f16 v57, v57, v35, -v26
	v_fma_f16 v51, v51, v34, -v25
	v_lshrrev_b32_e32 v25, 16, v37
	v_lshrrev_b32_e32 v26, 16, v38
	v_mul_f16_e32 v24, v63, v24
	v_lshrrev_b32_e32 v30, 16, v39
	v_fma_f16 v33, v63, v36, -v27
	v_add_f16_e32 v27, v62, v45
	v_fmac_f16_e32 v65, v75, v35
	v_mul_f16_e32 v28, v76, v25
	v_mul_f16_e32 v25, v60, v25
	v_fmac_f16_e32 v24, v78, v36
	v_mul_f16_e32 v31, v79, v26
	v_mul_f16_e32 v29, v68, v26
	;; [unrolled: 1-line block ×3, first 2 shown]
	v_add_f16_e32 v35, v19, v58
	v_fma_f16 v26, -0.5, v27, v19
	v_sub_f16_e32 v36, v84, v59
	v_add_f16_e32 v43, v58, v56
	v_fmac_f16_e32 v55, v71, v34
	v_fma_f16 v28, v60, v37, -v28
	v_fmac_f16_e32 v25, v76, v37
	v_fma_f16 v34, v68, v38, -v31
	;; [unrolled: 2-line block ×3, first 2 shown]
	v_add_f16_e32 v31, v35, v62
	v_fmamk_f16 v27, v36, 0x3b9c, v26
	v_sub_f16_e32 v35, v82, v86
	v_sub_f16_e32 v38, v58, v62
	;; [unrolled: 1-line block ×3, first 2 shown]
	v_mul_f16_e32 v32, v69, v30
	v_fmac_f16_e32 v19, -0.5, v43
	v_fmac_f16_e32 v26, 0xbb9c, v36
	v_add_f16_e32 v43, v23, v84
	v_add_f16_e32 v30, v31, v45
	v_fmac_f16_e32 v27, 0x38b4, v35
	v_add_f16_e32 v38, v38, v42
	v_fmac_f16_e32 v32, v80, v39
	v_fmamk_f16 v31, v35, 0xbb9c, v19
	v_sub_f16_e32 v39, v62, v58
	v_sub_f16_e32 v42, v45, v56
	v_fmac_f16_e32 v26, 0xb8b4, v35
	v_add_f16_e32 v44, v82, v86
	v_fmac_f16_e32 v19, 0x3b9c, v35
	v_add_f16_e32 v35, v43, v82
	v_add_f16_e32 v30, v30, v56
	v_fmac_f16_e32 v27, 0x34f2, v38
	v_fmac_f16_e32 v31, 0x38b4, v36
	v_add_f16_e32 v39, v39, v42
	v_fma_f16 v42, -0.5, v44, v23
	v_sub_f16_e32 v56, v58, v56
	v_fmac_f16_e32 v26, 0x34f2, v38
	v_fmac_f16_e32 v19, 0xb8b4, v36
	v_add_f16_e32 v35, v35, v86
	v_add_f16_e32 v36, v84, v59
	v_sub_f16_e32 v38, v62, v45
	v_sub_f16_e32 v45, v84, v82
	;; [unrolled: 1-line block ×3, first 2 shown]
	v_fmac_f16_e32 v31, 0x34f2, v39
	v_fmamk_f16 v43, v56, 0xbb9c, v42
	v_fmac_f16_e32 v19, 0x34f2, v39
	v_fmac_f16_e32 v23, -0.5, v36
	v_add_f16_e32 v44, v35, v59
	v_add_f16_e32 v35, v45, v58
	v_fmac_f16_e32 v42, 0x3b9c, v56
	v_sub_f16_e32 v36, v82, v84
	v_sub_f16_e32 v39, v86, v59
	v_add_f16_e32 v58, v49, v48
	v_fmac_f16_e32 v43, 0xb8b4, v38
	v_fmamk_f16 v45, v38, 0x3b9c, v23
	v_fmac_f16_e32 v42, 0x38b4, v38
	v_add_f16_e32 v36, v36, v39
	v_add_f16_e32 v39, v18, v40
	v_fma_f16 v58, -0.5, v58, v18
	v_sub_f16_e32 v59, v67, v61
	v_fmac_f16_e32 v23, 0xbb9c, v38
	v_add_f16_e32 v63, v40, v53
	v_fmac_f16_e32 v43, 0x34f2, v35
	v_fmac_f16_e32 v45, 0xb8b4, v56
	;; [unrolled: 1-line block ×3, first 2 shown]
	v_add_f16_e32 v35, v39, v49
	v_fmamk_f16 v38, v59, 0x3b9c, v58
	v_sub_f16_e32 v39, v77, v72
	v_sub_f16_e32 v60, v40, v49
	;; [unrolled: 1-line block ×3, first 2 shown]
	v_fmac_f16_e32 v23, 0x38b4, v56
	v_fmac_f16_e32 v18, -0.5, v63
	v_fmac_f16_e32 v58, 0xbb9c, v59
	v_add_f16_e32 v63, v2, v67
	v_fmac_f16_e32 v45, 0x34f2, v36
	v_fmac_f16_e32 v38, 0x38b4, v39
	v_add_f16_e32 v56, v60, v62
	v_fmac_f16_e32 v23, 0x34f2, v36
	v_fmamk_f16 v36, v39, 0xbb9c, v18
	v_sub_f16_e32 v60, v49, v40
	v_sub_f16_e32 v62, v48, v53
	v_fmac_f16_e32 v58, 0xb8b4, v39
	v_add_f16_e32 v68, v77, v72
	v_fmac_f16_e32 v18, 0x3b9c, v39
	v_add_f16_e32 v39, v63, v77
	v_add_f16_e32 v35, v35, v48
	v_fmac_f16_e32 v38, 0x34f2, v56
	v_fmac_f16_e32 v36, 0x38b4, v59
	v_add_f16_e32 v60, v60, v62
	v_fma_f16 v62, -0.5, v68, v2
	v_sub_f16_e32 v40, v40, v53
	v_fmac_f16_e32 v58, 0x34f2, v56
	v_fmac_f16_e32 v18, 0xb8b4, v59
	v_add_f16_e32 v39, v39, v72
	v_add_f16_e32 v56, v67, v61
	v_sub_f16_e32 v48, v49, v48
	v_sub_f16_e32 v49, v67, v77
	;; [unrolled: 1-line block ×3, first 2 shown]
	v_add_f16_e32 v35, v35, v53
	v_fmac_f16_e32 v36, 0x34f2, v60
	v_fmamk_f16 v53, v40, 0xbb9c, v62
	v_fmac_f16_e32 v18, 0x34f2, v60
	v_fmac_f16_e32 v2, -0.5, v56
	v_add_f16_e32 v56, v39, v61
	v_add_f16_e32 v39, v49, v59
	v_fmac_f16_e32 v62, 0x3b9c, v40
	v_sub_f16_e32 v59, v77, v67
	v_sub_f16_e32 v60, v72, v61
	v_add_f16_e32 v61, v46, v50
	v_fmac_f16_e32 v53, 0xb8b4, v48
	v_fmamk_f16 v49, v48, 0x3b9c, v2
	v_fmac_f16_e32 v62, 0x38b4, v48
	v_add_f16_e32 v59, v59, v60
	v_add_f16_e32 v60, v16, v41
	v_fma_f16 v61, -0.5, v61, v16
	v_sub_f16_e32 v63, v66, v64
	v_fmac_f16_e32 v2, 0xbb9c, v48
	v_add_f16_e32 v69, v41, v54
	v_fmac_f16_e32 v53, 0x34f2, v39
	v_fmac_f16_e32 v49, 0xb8b4, v40
	;; [unrolled: 1-line block ×3, first 2 shown]
	v_add_f16_e32 v39, v60, v46
	v_fmamk_f16 v48, v63, 0x3b9c, v61
	v_sub_f16_e32 v60, v73, v52
	v_sub_f16_e32 v67, v41, v46
	;; [unrolled: 1-line block ×3, first 2 shown]
	v_fmac_f16_e32 v2, 0x38b4, v40
	v_fmac_f16_e32 v16, -0.5, v69
	v_fmac_f16_e32 v61, 0xbb9c, v63
	v_add_f16_e32 v69, v1, v66
	v_fmac_f16_e32 v49, 0x34f2, v59
	v_fmac_f16_e32 v48, 0x38b4, v60
	v_add_f16_e32 v40, v67, v68
	v_fmac_f16_e32 v2, 0x34f2, v59
	v_fmamk_f16 v59, v60, 0xbb9c, v16
	v_sub_f16_e32 v67, v46, v41
	v_sub_f16_e32 v68, v50, v54
	v_fmac_f16_e32 v61, 0xb8b4, v60
	v_add_f16_e32 v71, v73, v52
	v_fmac_f16_e32 v16, 0x3b9c, v60
	v_add_f16_e32 v60, v69, v73
	v_add_f16_e32 v39, v39, v50
	v_fmac_f16_e32 v48, 0x34f2, v40
	v_fmac_f16_e32 v59, 0x38b4, v63
	v_add_f16_e32 v67, v67, v68
	v_fma_f16 v68, -0.5, v71, v1
	v_sub_f16_e32 v41, v41, v54
	v_fmac_f16_e32 v61, 0x34f2, v40
	v_fmac_f16_e32 v16, 0xb8b4, v63
	v_add_f16_e32 v40, v60, v52
	v_add_f16_e32 v60, v66, v64
	v_sub_f16_e32 v46, v46, v50
	v_sub_f16_e32 v50, v66, v73
	;; [unrolled: 1-line block ×3, first 2 shown]
	v_add_f16_e32 v39, v39, v54
	v_fmamk_f16 v54, v41, 0xbb9c, v68
	v_fmac_f16_e32 v1, -0.5, v60
	v_add_f16_e32 v60, v40, v64
	v_add_f16_e32 v40, v50, v63
	v_fmac_f16_e32 v68, 0x3b9c, v41
	v_sub_f16_e32 v63, v73, v66
	v_sub_f16_e32 v52, v52, v64
	v_add_f16_e32 v64, v47, v51
	v_fmac_f16_e32 v54, 0xb8b4, v46
	v_fmamk_f16 v50, v46, 0x3b9c, v1
	v_fmac_f16_e32 v68, 0x38b4, v46
	v_add_f16_e32 v52, v63, v52
	v_add_f16_e32 v63, v3, v74
	v_fma_f16 v64, -0.5, v64, v3
	v_sub_f16_e32 v66, v70, v65
	v_fmac_f16_e32 v1, 0xbb9c, v46
	v_add_f16_e32 v71, v74, v57
	v_fmac_f16_e32 v59, 0x34f2, v67
	v_fmac_f16_e32 v16, 0x34f2, v67
	;; [unrolled: 1-line block ×5, first 2 shown]
	v_add_f16_e32 v40, v63, v47
	v_fmamk_f16 v46, v66, 0x3b9c, v64
	v_sub_f16_e32 v63, v81, v55
	v_sub_f16_e32 v67, v74, v47
	;; [unrolled: 1-line block ×3, first 2 shown]
	v_fmac_f16_e32 v1, 0x38b4, v41
	v_fmac_f16_e32 v3, -0.5, v71
	v_fmac_f16_e32 v64, 0xbb9c, v66
	v_add_f16_e32 v71, v0, v70
	v_fmac_f16_e32 v50, 0x34f2, v52
	v_add_f16_e32 v40, v40, v51
	;; [unrolled: 2-line block ×3, first 2 shown]
	v_fmac_f16_e32 v1, 0x34f2, v52
	v_fmamk_f16 v52, v63, 0xbb9c, v3
	v_sub_f16_e32 v67, v47, v74
	v_sub_f16_e32 v69, v51, v57
	v_fmac_f16_e32 v64, 0xb8b4, v63
	v_add_f16_e32 v72, v81, v55
	v_fmac_f16_e32 v3, 0x3b9c, v63
	v_add_f16_e32 v63, v71, v81
	v_add_f16_e32 v40, v40, v57
	v_fmac_f16_e32 v46, 0x34f2, v41
	v_fmac_f16_e32 v52, 0x38b4, v66
	v_add_f16_e32 v67, v67, v69
	v_fma_f16 v69, -0.5, v72, v0
	v_sub_f16_e32 v57, v74, v57
	v_fmac_f16_e32 v64, 0x34f2, v41
	v_fmac_f16_e32 v3, 0xb8b4, v66
	v_add_f16_e32 v41, v63, v55
	v_add_f16_e32 v66, v70, v65
	v_fmac_f16_e32 v52, 0x34f2, v67
	v_fmamk_f16 v63, v57, 0xbb9c, v69
	v_sub_f16_e32 v47, v47, v51
	v_sub_f16_e32 v51, v70, v81
	;; [unrolled: 1-line block ×3, first 2 shown]
	v_fmac_f16_e32 v3, 0x34f2, v67
	v_fmac_f16_e32 v0, -0.5, v66
	v_add_f16_e32 v66, v41, v65
	v_fmac_f16_e32 v69, 0x3b9c, v57
	v_sub_f16_e32 v67, v81, v70
	v_sub_f16_e32 v55, v55, v65
	v_add_f16_e32 v65, v28, v34
	v_fmac_f16_e32 v63, 0xb8b4, v47
	v_add_f16_e32 v41, v51, v71
	v_fmamk_f16 v51, v47, 0x3b9c, v0
	v_fmac_f16_e32 v69, 0x38b4, v47
	v_add_f16_e32 v55, v67, v55
	v_fmac_f16_e32 v0, 0xbb9c, v47
	v_add_f16_e32 v47, v17, v33
	v_fma_f16 v65, -0.5, v65, v17
	v_sub_f16_e32 v67, v24, v32
	v_fmac_f16_e32 v63, 0x34f2, v41
	v_fmac_f16_e32 v51, 0xb8b4, v57
	;; [unrolled: 1-line block ×4, first 2 shown]
	v_add_f16_e32 v41, v47, v28
	v_fmamk_f16 v47, v67, 0x3b9c, v65
	v_sub_f16_e32 v57, v25, v29
	v_sub_f16_e32 v70, v33, v28
	;; [unrolled: 1-line block ×3, first 2 shown]
	v_fmac_f16_e32 v65, 0xbb9c, v67
	v_add_f16_e32 v72, v33, v37
	v_add_f16_e32 v41, v41, v34
	v_fmac_f16_e32 v47, 0x38b4, v57
	v_add_f16_e32 v70, v70, v71
	v_fmac_f16_e32 v65, 0xb8b4, v57
	v_fmac_f16_e32 v17, -0.5, v72
	v_sub_f16_e32 v71, v28, v33
	v_sub_f16_e32 v72, v34, v37
	v_fmac_f16_e32 v51, 0x34f2, v55
	v_fmac_f16_e32 v0, 0x34f2, v55
	v_add_f16_e32 v41, v41, v37
	v_fmac_f16_e32 v47, 0x34f2, v70
	v_fmac_f16_e32 v65, 0x34f2, v70
	v_fmamk_f16 v55, v57, 0xbb9c, v17
	v_add_f16_e32 v70, v25, v29
	v_fmac_f16_e32 v17, 0x3b9c, v57
	v_add_f16_e32 v57, v7, v24
	v_sub_f16_e32 v33, v33, v37
	v_add_f16_e32 v37, v71, v72
	v_add_f16_e32 v71, v24, v32
	v_fma_f16 v70, -0.5, v70, v7
	v_fmac_f16_e32 v55, 0x38b4, v67
	v_fmac_f16_e32 v17, 0xb8b4, v67
	v_add_f16_e32 v57, v57, v25
	v_sub_f16_e32 v28, v28, v34
	v_fmac_f16_e32 v7, -0.5, v71
	v_fmamk_f16 v67, v33, 0xbb9c, v70
	v_fmac_f16_e32 v55, 0x34f2, v37
	v_fmac_f16_e32 v17, 0x34f2, v37
	v_add_f16_e32 v34, v57, v29
	v_sub_f16_e32 v37, v24, v25
	v_sub_f16_e32 v57, v32, v29
	v_fmac_f16_e32 v70, 0x3b9c, v33
	v_fmamk_f16 v71, v28, 0x3b9c, v7
	v_sub_f16_e32 v24, v25, v24
	v_sub_f16_e32 v25, v29, v32
	v_fmac_f16_e32 v7, 0xbb9c, v28
	v_fmac_f16_e32 v67, 0xb8b4, v28
	v_add_f16_e32 v29, v37, v57
	v_fmac_f16_e32 v70, 0x38b4, v28
	v_fmac_f16_e32 v71, 0xb8b4, v33
	v_add_f16_e32 v24, v24, v25
	v_fmac_f16_e32 v7, 0x38b4, v33
	v_lshl_add_u32 v72, v20, 1, 0
	v_add_f16_e32 v57, v34, v32
	v_fmac_f16_e32 v67, 0x34f2, v29
	v_fmac_f16_e32 v70, 0x34f2, v29
	;; [unrolled: 1-line block ×4, first 2 shown]
	ds_store_b16 v12, v30
	ds_store_b16 v12, v27 offset:250
	ds_store_b16 v12, v31 offset:500
	;; [unrolled: 1-line block ×9, first 2 shown]
	v_lshl_add_u32 v58, v21, 1, 0
	v_lshl_add_u32 v73, v22, 1, 0
	ds_store_b16 v72, v39 offset:2500
	ds_store_b16 v72, v48 offset:2750
	;; [unrolled: 1-line block ×15, first 2 shown]
	s_waitcnt lgkmcnt(0)
	s_barrier
	buffer_gl0_inv
	ds_load_u16 v19, v12 offset:1500
	ds_load_u16 v26, v12 offset:1750
	ds_load_u16 v16, v12
	ds_load_u16 v17, v12 offset:250
	ds_load_u16 v18, v12 offset:500
	;; [unrolled: 1-line block ×22, first 2 shown]
	s_waitcnt lgkmcnt(0)
	s_barrier
	buffer_gl0_inv
	ds_store_b16 v12, v44
	ds_store_b16 v12, v43 offset:250
	ds_store_b16 v12, v45 offset:500
	;; [unrolled: 1-line block ×24, first 2 shown]
	s_waitcnt lgkmcnt(0)
	s_barrier
	buffer_gl0_inv
	s_and_saveexec_b32 s0, vcc_lo
	s_cbranch_execz .LBB0_13
; %bb.12:
	v_lshlrev_b32_e32 v7, 2, v11
	v_mul_hi_u32 v11, 0xd1b71759, v11
	global_load_b128 v[42:45], v[9:10], off offset:2480
	v_lshlrev_b64 v[0:1], 2, v[7:8]
	v_lshlrev_b32_e32 v7, 2, v15
	s_delay_alu instid0(VALU_DEP_2) | instskip(NEXT) | instid1(VALU_DEP_3)
	v_add_co_u32 v0, vcc_lo, s4, v0
	v_add_co_ci_u32_e32 v1, vcc_lo, s5, v1, vcc_lo
	s_delay_alu instid0(VALU_DEP_3)
	v_lshlrev_b64 v[9:10], 2, v[7:8]
	v_lshlrev_b32_e32 v7, 2, v14
	global_load_b128 v[0:3], v[0:1], off offset:2480
	v_add_co_u32 v9, vcc_lo, s4, v9
	v_add_co_ci_u32_e32 v10, vcc_lo, s5, v10, vcc_lo
	global_load_b128 v[46:49], v[9:10], off offset:2480
	v_lshlrev_b64 v[9:10], 2, v[7:8]
	v_lshlrev_b32_e32 v7, 2, v13
	s_delay_alu instid0(VALU_DEP_2) | instskip(NEXT) | instid1(VALU_DEP_3)
	v_add_co_u32 v9, vcc_lo, s4, v9
	v_add_co_ci_u32_e32 v10, vcc_lo, s5, v10, vcc_lo
	global_load_b128 v[50:53], v[9:10], off offset:2480
	v_lshlrev_b64 v[9:10], 2, v[7:8]
	s_delay_alu instid0(VALU_DEP_1) | instskip(NEXT) | instid1(VALU_DEP_2)
	v_add_co_u32 v9, vcc_lo, s4, v9
	v_add_co_ci_u32_e32 v10, vcc_lo, s5, v10, vcc_lo
	v_add_co_u32 v4, vcc_lo, s8, v4
	v_add_co_ci_u32_e32 v5, vcc_lo, s9, v5, vcc_lo
	global_load_b128 v[54:57], v[9:10], off offset:2480
	ds_load_u16 v7, v12 offset:4750
	ds_load_u16 v9, v12 offset:6000
	;; [unrolled: 1-line block ×24, first 2 shown]
	ds_load_u16 v12, v12
	s_waitcnt vmcnt(4)
	v_lshrrev_b32_e32 v83, 16, v42
	v_lshrrev_b32_e32 v84, 16, v43
	;; [unrolled: 1-line block ×4, first 2 shown]
	s_waitcnt lgkmcnt(17)
	v_mul_f16_e32 v87, v43, v58
	s_waitcnt lgkmcnt(12)
	v_mul_f16_e32 v88, v42, v63
	v_mul_f16_e32 v89, v44, v10
	;; [unrolled: 1-line block ×4, first 2 shown]
	v_fmac_f16_e32 v87, v36, v84
	v_fmac_f16_e32 v88, v35, v83
	;; [unrolled: 1-line block ×3, first 2 shown]
	v_mul_f16_e32 v10, v85, v10
	v_fma_f16 v35, v35, v42, -v63
	v_fma_f16 v36, v36, v43, -v58
	v_sub_f16_e32 v58, v87, v88
	s_waitcnt vmcnt(3)
	v_lshrrev_b32_e32 v75, 16, v0
	v_mul_f16_e32 v80, v0, v59
	v_lshrrev_b32_e32 v76, 16, v1
	v_lshrrev_b32_e32 v77, 16, v2
	;; [unrolled: 1-line block ×3, first 2 shown]
	v_mul_f16_e32 v79, v1, v13
	v_mul_f16_e32 v81, v2, v7
	;; [unrolled: 1-line block ×3, first 2 shown]
	v_fmac_f16_e32 v80, v40, v75
	v_mul_f16_e32 v59, v75, v59
	s_waitcnt lgkmcnt(8)
	v_mul_f16_e32 v75, v45, v67
	v_fmac_f16_e32 v79, v38, v76
	v_fmac_f16_e32 v81, v39, v77
	;; [unrolled: 1-line block ×3, first 2 shown]
	v_mul_f16_e32 v9, v78, v9
	v_mul_f16_e32 v13, v76, v13
	;; [unrolled: 1-line block ×3, first 2 shown]
	s_waitcnt vmcnt(2)
	v_lshrrev_b32_e32 v76, 16, v46
	v_lshrrev_b32_e32 v77, 16, v47
	;; [unrolled: 1-line block ×4, first 2 shown]
	v_fmac_f16_e32 v75, v37, v86
	v_mul_f16_e32 v67, v86, v67
	v_mul_f16_e32 v86, v47, v14
	;; [unrolled: 1-line block ×3, first 2 shown]
	s_waitcnt lgkmcnt(7)
	v_mul_f16_e32 v85, v48, v68
	v_fma_f16 v0, v40, v0, -v59
	v_mul_f16_e32 v40, v49, v64
	v_fma_f16 v3, v41, v3, -v9
	v_fma_f16 v1, v38, v1, -v13
	;; [unrolled: 1-line block ×3, first 2 shown]
	v_add_f16_e32 v7, v80, v82
	v_sub_f16_e32 v38, v80, v79
	v_sub_f16_e32 v39, v82, v81
	v_add_f16_e32 v41, v79, v81
	s_waitcnt lgkmcnt(4)
	v_add_f16_e32 v59, v80, v71
	v_fmac_f16_e32 v84, v31, v76
	v_mul_f16_e32 v60, v76, v60
	v_fmac_f16_e32 v86, v30, v77
	v_fmac_f16_e32 v85, v32, v78
	;; [unrolled: 1-line block ×3, first 2 shown]
	v_mul_f16_e32 v64, v83, v64
	v_mul_f16_e32 v14, v77, v14
	;; [unrolled: 1-line block ×3, first 2 shown]
	s_waitcnt vmcnt(1)
	v_lshrrev_b32_e32 v77, 16, v50
	v_lshrrev_b32_e32 v78, 16, v51
	;; [unrolled: 1-line block ×4, first 2 shown]
	v_fma_f16 v37, v37, v45, -v67
	v_mul_f16_e32 v45, v51, v15
	v_mul_f16_e32 v43, v50, v61
	v_fma_f16 v10, v34, v44, -v10
	v_mul_f16_e32 v44, v53, v65
	v_sub_f16_e32 v9, v79, v80
	v_sub_f16_e32 v76, v79, v81
	v_mul_f16_e32 v34, v52, v69
	v_add_f16_e32 v38, v38, v39
	v_sub_f16_e32 v39, v0, v3
	v_fma_f16 v90, -0.5, v7, v71
	v_fma_f16 v41, -0.5, v41, v71
	v_sub_f16_e32 v7, v1, v2
	v_add_f16_e32 v59, v79, v59
	v_sub_f16_e32 v71, v1, v0
	v_fma_f16 v31, v31, v46, -v60
	v_fma_f16 v33, v33, v49, -v64
	v_add_f16_e32 v49, v0, v3
	v_fma_f16 v14, v30, v47, -v14
	v_sub_f16_e32 v30, v0, v1
	v_fma_f16 v32, v32, v48, -v68
	v_add_f16_e32 v48, v1, v2
	v_add_f16_e32 v0, v25, v0
	v_sub_f16_e32 v60, v86, v84
	v_sub_f16_e32 v64, v85, v40
	v_add_f16_e32 v68, v84, v40
	v_fmac_f16_e32 v43, v26, v77
	v_mul_f16_e32 v61, v77, v61
	v_sub_f16_e32 v77, v84, v86
	v_fmac_f16_e32 v44, v29, v42
	v_mul_f16_e32 v42, v42, v65
	v_sub_f16_e32 v65, v40, v85
	v_fmac_f16_e32 v45, v27, v78
	v_mul_f16_e32 v15, v78, v15
	v_add_f16_e32 v78, v86, v85
	v_mul_f16_e32 v69, v83, v69
	s_waitcnt lgkmcnt(3)
	v_add_f16_e32 v79, v84, v72
	v_sub_f16_e32 v13, v81, v82
	v_fmac_f16_e32 v34, v28, v83
	v_fma_f16 v26, v26, v50, -v61
	v_sub_f16_e32 v61, v84, v40
	v_fma_f16 v29, v29, v53, -v42
	v_fma_f16 v15, v27, v51, -v15
	s_waitcnt vmcnt(0)
	v_lshrrev_b32_e32 v27, 16, v55
	v_fma_f16 v28, v28, v52, -v69
	v_lshrrev_b32_e32 v52, 16, v57
	v_mul_f16_e32 v53, v55, v23
	v_add_f16_e32 v59, v81, v59
	v_mul_f16_e32 v81, v57, v66
	v_fma_f16 v49, -0.5, v49, v25
	v_fma_f16 v25, -0.5, v48, v25
	v_fmamk_f16 v48, v7, 0xbb9c, v90
	v_fmac_f16_e32 v90, 0x3b9c, v7
	v_add_f16_e32 v0, v1, v0
	v_fmamk_f16 v84, v39, 0x3b9c, v41
	v_fmac_f16_e32 v41, 0xbb9c, v39
	v_add_f16_e32 v1, v60, v64
	v_fma_f16 v64, -0.5, v68, v72
	v_add_f16_e32 v65, v77, v65
	v_fma_f16 v72, -0.5, v78, v72
	v_add_f16_e32 v77, v86, v79
	v_sub_f16_e32 v78, v14, v31
	v_sub_f16_e32 v79, v32, v33
	;; [unrolled: 1-line block ×6, first 2 shown]
	v_lshrrev_b32_e32 v42, 16, v54
	v_lshrrev_b32_e32 v51, 16, v56
	v_mul_f16_e32 v69, v54, v62
	v_mul_f16_e32 v83, v56, v70
	v_sub_f16_e32 v68, v14, v32
	v_fmac_f16_e32 v81, v22, v52
	v_mul_f16_e32 v52, v52, v66
	v_sub_f16_e32 v66, v31, v14
	v_fmac_f16_e32 v53, v20, v27
	;; [unrolled: 3-line block ×3, first 2 shown]
	v_fmac_f16_e32 v90, 0xb8b4, v39
	v_sub_f16_e32 v39, v45, v43
	v_fmac_f16_e32 v84, 0x38b4, v7
	v_fmac_f16_e32 v41, 0xb8b4, v7
	v_sub_f16_e32 v7, v34, v44
	v_add_f16_e32 v59, v82, v59
	v_add_f16_e32 v82, v43, v44
	v_add_f16_e32 v0, v0, v2
	v_sub_f16_e32 v2, v43, v45
	v_add_f16_e32 v77, v85, v77
	v_sub_f16_e32 v85, v44, v34
	v_add_f16_e32 v78, v78, v79
	v_add_f16_e32 v79, v45, v34
	;; [unrolled: 1-line block ×3, first 2 shown]
	v_sub_f16_e32 v60, v31, v33
	v_fmac_f16_e32 v69, v19, v42
	v_mul_f16_e32 v42, v42, v62
	v_add_f16_e32 v62, v31, v33
	v_fmac_f16_e32 v83, v21, v51
	v_mul_f16_e32 v51, v51, v70
	v_add_f16_e32 v70, v14, v32
	v_add_f16_e32 v27, v66, v27
	s_waitcnt lgkmcnt(2)
	v_add_f16_e32 v66, v43, v73
	v_add_f16_e32 v7, v39, v7
	v_fmamk_f16 v39, v76, 0x3b9c, v49
	v_fmac_f16_e32 v49, 0xbb9c, v76
	v_add_f16_e32 v2, v2, v85
	v_fmamk_f16 v85, v80, 0xbb9c, v25
	v_fmac_f16_e32 v25, 0x3b9c, v80
	v_fma_f16 v82, -0.5, v82, v73
	v_fma_f16 v73, -0.5, v79, v73
	v_fmamk_f16 v79, v68, 0xbb9c, v64
	v_fmac_f16_e32 v64, 0x3b9c, v68
	v_add_f16_e32 v31, v24, v31
	v_fma_f16 v62, -0.5, v62, v24
	v_fma_f16 v24, -0.5, v70, v24
	v_sub_f16_e32 v70, v45, v34
	v_add_f16_e32 v45, v45, v66
	v_fmamk_f16 v66, v60, 0x3b9c, v72
	v_fmac_f16_e32 v72, 0xbb9c, v60
	v_fma_f16 v19, v19, v54, -v42
	v_sub_f16_e32 v42, v26, v29
	v_fma_f16 v22, v22, v57, -v52
	v_fma_f16 v20, v20, v55, -v23
	v_sub_f16_e32 v23, v15, v26
	v_fma_f16 v21, v21, v56, -v51
	v_add_f16_e32 v54, v26, v29
	v_sub_f16_e32 v55, v26, v15
	v_add_f16_e32 v57, v15, v28
	v_add_f16_e32 v26, v18, v26
	v_fmac_f16_e32 v48, 0x34f2, v9
	v_fmac_f16_e32 v90, 0x34f2, v9
	v_sub_f16_e32 v9, v53, v69
	v_fmac_f16_e32 v84, 0x34f2, v38
	v_fmac_f16_e32 v41, 0x34f2, v38
	v_sub_f16_e32 v38, v83, v81
	v_fmac_f16_e32 v39, 0xb8b4, v80
	v_fmac_f16_e32 v49, 0x38b4, v80
	v_add_f16_e32 v80, v69, v81
	v_fmac_f16_e32 v85, 0xb8b4, v76
	v_fmac_f16_e32 v25, 0x38b4, v76
	v_sub_f16_e32 v76, v69, v53
	v_add_f16_e32 v86, v0, v3
	v_sub_f16_e32 v0, v81, v83
	v_fmac_f16_e32 v79, 0x38b4, v60
	v_fmac_f16_e32 v64, 0xb8b4, v60
	v_add_f16_e32 v3, v53, v83
	s_waitcnt lgkmcnt(1)
	v_add_f16_e32 v60, v69, v74
	v_add_f16_e32 v67, v88, v75
	v_sub_f16_e32 v52, v15, v28
	v_fmac_f16_e32 v66, 0x38b4, v68
	v_fmac_f16_e32 v72, 0xb8b4, v68
	v_add_f16_e32 v40, v40, v77
	v_sub_f16_e32 v68, v53, v83
	v_fma_f16 v54, -0.5, v54, v18
	v_fma_f16 v18, -0.5, v57, v18
	v_add_f16_e32 v15, v15, v26
	v_add_f16_e32 v9, v9, v38
	v_sub_f16_e32 v26, v19, v22
	v_fma_f16 v38, -0.5, v80, v74
	v_sub_f16_e32 v57, v20, v21
	v_add_f16_e32 v0, v76, v0
	v_fma_f16 v74, -0.5, v3, v74
	v_add_f16_e32 v3, v53, v60
	v_sub_f16_e32 v53, v20, v19
	v_add_f16_e32 v76, v19, v22
	v_sub_f16_e32 v77, v19, v20
	v_add_f16_e32 v19, v17, v19
	s_waitcnt lgkmcnt(0)
	v_fma_f16 v67, -0.5, v67, v12
	v_add_f16_e32 v30, v30, v47
	v_sub_f16_e32 v47, v36, v10
	v_sub_f16_e32 v51, v28, v29
	;; [unrolled: 1-line block ×3, first 2 shown]
	v_fmac_f16_e32 v79, 0x34f2, v1
	v_fmac_f16_e32 v64, 0x34f2, v1
	v_add_f16_e32 v1, v15, v28
	v_fmamk_f16 v15, v57, 0xbb9c, v38
	v_fmac_f16_e32 v38, 0x3b9c, v57
	v_fmamk_f16 v28, v26, 0x3b9c, v74
	v_fmac_f16_e32 v74, 0xbb9c, v26
	v_add_f16_e32 v19, v20, v19
	v_sub_f16_e32 v63, v89, v75
	v_add_f16_e32 v46, v71, v46
	v_sub_f16_e32 v71, v35, v37
	v_add_f16_e32 v14, v14, v31
	v_fmamk_f16 v31, v47, 0xbb9c, v67
	v_fmac_f16_e32 v67, 0x3b9c, v47
	v_add_f16_e32 v55, v55, v56
	v_fmamk_f16 v56, v42, 0x3b9c, v73
	v_fmac_f16_e32 v73, 0xbb9c, v42
	v_fmac_f16_e32 v85, 0x34f2, v30
	;; [unrolled: 1-line block ×3, first 2 shown]
	v_add_f16_e32 v30, v20, v21
	v_add_f16_e32 v3, v83, v3
	;; [unrolled: 1-line block ×3, first 2 shown]
	v_fmac_f16_e32 v15, 0x38b4, v26
	v_fmac_f16_e32 v38, 0xb8b4, v26
	;; [unrolled: 1-line block ×4, first 2 shown]
	v_add_f16_e32 v1, v19, v21
	v_add_f16_e32 v13, v87, v89
	v_fmac_f16_e32 v56, 0x38b4, v52
	v_fmac_f16_e32 v73, 0xb8b4, v52
	v_add_f16_e32 v26, v81, v3
	v_fmac_f16_e32 v15, 0x34f2, v9
	v_fmac_f16_e32 v38, 0x34f2, v9
	;; [unrolled: 1-line block ×4, first 2 shown]
	v_add_f16_e32 v9, v1, v22
	v_add_f16_e32 v0, v58, v63
	v_fmac_f16_e32 v31, 0x38b4, v71
	v_fmac_f16_e32 v67, 0xb8b4, v71
	v_sub_f16_e32 v1, v88, v87
	v_sub_f16_e32 v3, v75, v89
	v_add_f16_e32 v14, v14, v32
	v_add_f16_e32 v34, v34, v45
	;; [unrolled: 1-line block ×3, first 2 shown]
	v_fmamk_f16 v51, v52, 0xbb9c, v82
	v_fmac_f16_e32 v82, 0x3b9c, v52
	v_fmac_f16_e32 v56, 0x34f2, v2
	;; [unrolled: 1-line block ×3, first 2 shown]
	v_fma_f16 v2, -0.5, v13, v12
	v_fmac_f16_e32 v31, 0x34f2, v0
	v_fmac_f16_e32 v67, 0x34f2, v0
	v_add_f16_e32 v0, v1, v3
	v_add_f16_e32 v1, v88, v12
	v_sub_f16_e32 v12, v36, v35
	v_sub_f16_e32 v19, v10, v37
	;; [unrolled: 1-line block ×3, first 2 shown]
	v_add_f16_e32 v14, v14, v33
	v_fmac_f16_e32 v51, 0x38b4, v42
	v_fmac_f16_e32 v82, 0xb8b4, v42
	v_add_f16_e32 v33, v44, v34
	v_fmamk_f16 v34, v70, 0x3b9c, v54
	v_fmac_f16_e32 v54, 0xbb9c, v70
	v_fmamk_f16 v13, v71, 0x3b9c, v2
	v_fmac_f16_e32 v2, 0xbb9c, v71
	v_add_f16_e32 v1, v87, v1
	v_add_f16_e32 v12, v12, v19
	;; [unrolled: 1-line block ×3, first 2 shown]
	v_fmamk_f16 v45, v61, 0xbb9c, v24
	v_fmac_f16_e32 v24, 0x3b9c, v61
	v_sub_f16_e32 v60, v21, v22
	v_fmac_f16_e32 v39, 0x34f2, v46
	v_fmac_f16_e32 v49, 0x34f2, v46
	v_sub_f16_e32 v46, v22, v21
	v_fmac_f16_e32 v51, 0x34f2, v7
	v_fmac_f16_e32 v82, 0x34f2, v7
	;; [unrolled: 1-line block ×4, first 2 shown]
	v_add_f16_e32 v7, v35, v37
	v_fmac_f16_e32 v13, 0x38b4, v47
	v_sub_f16_e32 v22, v88, v75
	v_fmac_f16_e32 v2, 0xb8b4, v47
	v_add_f16_e32 v1, v89, v1
	v_fma_f16 v19, -0.5, v19, v16
	v_fmamk_f16 v32, v50, 0x3b9c, v62
	v_fmac_f16_e32 v62, 0xbb9c, v50
	v_fmac_f16_e32 v45, 0xb8b4, v50
	;; [unrolled: 1-line block ×3, first 2 shown]
	v_fma_f16 v50, -0.5, v76, v17
	v_fma_f16 v17, -0.5, v30, v17
	v_fmac_f16_e32 v34, 0x34f2, v23
	v_fmac_f16_e32 v54, 0x34f2, v23
	v_fma_f16 v3, -0.5, v7, v16
	v_sub_f16_e32 v7, v87, v89
	v_fmac_f16_e32 v13, 0x34f2, v0
	v_fmac_f16_e32 v2, 0x34f2, v0
	v_add_f16_e32 v23, v75, v1
	v_sub_f16_e32 v0, v35, v36
	v_sub_f16_e32 v1, v37, v10
	v_fmamk_f16 v30, v22, 0xbb9c, v19
	v_fmac_f16_e32 v19, 0x3b9c, v22
	v_add_f16_e32 v16, v16, v35
	v_sub_f16_e32 v69, v69, v81
	v_fmamk_f16 v21, v7, 0x3b9c, v3
	v_fmac_f16_e32 v3, 0xbb9c, v7
	v_add_f16_e32 v0, v0, v1
	v_fmac_f16_e32 v30, 0xb8b4, v7
	v_fmac_f16_e32 v19, 0x38b4, v7
	v_add_f16_e32 v1, v36, v16
	v_mov_b32_e32 v7, v8
	v_fmac_f16_e32 v45, 0x34f2, v27
	v_fmac_f16_e32 v24, 0x34f2, v27
	v_fmamk_f16 v27, v68, 0x3b9c, v50
	v_fmac_f16_e32 v50, 0xbb9c, v68
	v_fmamk_f16 v29, v69, 0xbb9c, v17
	v_fmac_f16_e32 v17, 0x3b9c, v69
	v_fmac_f16_e32 v30, 0x34f2, v0
	;; [unrolled: 1-line block ×3, first 2 shown]
	v_add_f16_e32 v10, v1, v10
	v_lshlrev_b64 v[0:1], 2, v[6:7]
	v_fmac_f16_e32 v3, 0x38b4, v22
	v_add_f16_e32 v44, v53, v60
	v_add_f16_e32 v46, v77, v46
	v_fmac_f16_e32 v50, 0x38b4, v69
	v_fmac_f16_e32 v17, 0x38b4, v68
	v_add_f16_e32 v6, v10, v37
	v_add_co_u32 v0, vcc_lo, v4, v0
	v_fmac_f16_e32 v3, 0x34f2, v12
	v_add_co_ci_u32_e32 v1, vcc_lo, v5, v1, vcc_lo
	v_fmac_f16_e32 v50, 0x34f2, v44
	v_fmac_f16_e32 v17, 0x34f2, v46
	v_pack_b32_f16 v6, v6, v23
	v_pack_b32_f16 v10, v19, v2
	v_add_co_u32 v2, vcc_lo, 0x1000, v0
	v_pack_b32_f16 v9, v9, v26
	v_pack_b32_f16 v20, v20, v33
	;; [unrolled: 1-line block ×3, first 2 shown]
	v_add_co_ci_u32_e32 v3, vcc_lo, 0, v1, vcc_lo
	v_pack_b32_f16 v16, v17, v74
	v_pack_b32_f16 v17, v50, v38
	s_clause 0x2
	global_store_b32 v[0:1], v6, off
	global_store_b32 v[0:1], v9, off offset:500
	global_store_b32 v[0:1], v20, off offset:1000
	v_pack_b32_f16 v6, v54, v82
	v_fmamk_f16 v42, v43, 0xbb9c, v18
	v_fmac_f16_e32 v18, 0x3b9c, v43
	s_clause 0x2
	global_store_b32 v[2:3], v7, off offset:904
	global_store_b32 v[2:3], v17, off offset:1404
	global_store_b32 v[2:3], v6, off offset:1904
	v_lshrrev_b32_e32 v6, 9, v11
	v_fmac_f16_e32 v62, 0x38b4, v61
	v_fmac_f16_e32 v21, 0xb8b4, v22
	;; [unrolled: 1-line block ×4, first 2 shown]
	v_mul_u32_u24_e32 v7, 0x9c4, v6
	v_fmac_f16_e32 v72, 0x34f2, v65
	v_fmac_f16_e32 v32, 0xb8b4, v61
	;; [unrolled: 1-line block ×3, first 2 shown]
	v_pack_b32_f16 v14, v14, v40
	v_fmac_f16_e32 v62, 0x34f2, v78
	v_lshlrev_b64 v[6:7], 2, v[7:8]
	v_fmac_f16_e32 v21, 0x34f2, v12
	v_fmac_f16_e32 v27, 0x34f2, v44
	v_add_co_u32 v4, vcc_lo, 0x2000, v0
	v_pack_b32_f16 v9, v18, v73
	v_fmac_f16_e32 v32, 0x34f2, v78
	global_store_b32 v[0:1], v14, off offset:1500
	v_pack_b32_f16 v14, v24, v72
	v_fmac_f16_e32 v29, 0xb8b4, v68
	v_add_co_ci_u32_e32 v5, vcc_lo, 0, v1, vcc_lo
	v_pack_b32_f16 v18, v62, v64
	v_fmac_f16_e32 v42, 0xb8b4, v70
	v_pack_b32_f16 v12, v21, v31
	s_clause 0x4
	global_store_b32 v[0:1], v10, off offset:2500
	global_store_b32 v[0:1], v16, off offset:3000
	;; [unrolled: 1-line block ×5, first 2 shown]
	v_add_co_u32 v0, vcc_lo, v0, v6
	v_pack_b32_f16 v15, v27, v15
	v_pack_b32_f16 v11, v34, v51
	v_add_co_ci_u32_e32 v1, vcc_lo, v1, v7, vcc_lo
	v_pack_b32_f16 v9, v32, v79
	v_fmac_f16_e32 v29, 0x34f2, v46
	v_fmac_f16_e32 v42, 0x34f2, v55
	s_clause 0x3
	global_store_b32 v[2:3], v12, off offset:3404
	global_store_b32 v[2:3], v15, off offset:3904
	;; [unrolled: 1-line block ×4, first 2 shown]
	v_add_co_u32 v2, vcc_lo, 0x7d0, v0
	v_fmac_f16_e32 v66, 0x34f2, v65
	v_add_co_ci_u32_e32 v3, vcc_lo, 0, v1, vcc_lo
	v_pack_b32_f16 v13, v30, v13
	v_add_co_u32 v6, vcc_lo, 0x1000, v0
	v_pack_b32_f16 v19, v29, v28
	v_pack_b32_f16 v17, v42, v56
	v_add_co_ci_u32_e32 v7, vcc_lo, 0, v1, vcc_lo
	v_pack_b32_f16 v10, v45, v66
	v_add_co_u32 v8, vcc_lo, 0x2000, v0
	v_pack_b32_f16 v11, v86, v59
	v_pack_b32_f16 v12, v25, v41
	;; [unrolled: 1-line block ×4, first 2 shown]
	v_add_co_ci_u32_e32 v9, vcc_lo, 0, v1, vcc_lo
	v_pack_b32_f16 v16, v85, v84
	s_clause 0x8
	global_store_b32 v[4:5], v13, off offset:1808
	global_store_b32 v[4:5], v19, off offset:2308
	;; [unrolled: 1-line block ×9, first 2 shown]
.LBB0_13:
	s_nop 0
	s_sendmsg sendmsg(MSG_DEALLOC_VGPRS)
	s_endpgm
	.section	.rodata,"a",@progbits
	.p2align	6, 0x0
	.amdhsa_kernel fft_rtc_fwd_len3125_factors_5_5_5_5_5_wgs_125_tpt_125_halfLds_half_ip_CI_unitstride_sbrr_dirReg
		.amdhsa_group_segment_fixed_size 0
		.amdhsa_private_segment_fixed_size 0
		.amdhsa_kernarg_size 88
		.amdhsa_user_sgpr_count 15
		.amdhsa_user_sgpr_dispatch_ptr 0
		.amdhsa_user_sgpr_queue_ptr 0
		.amdhsa_user_sgpr_kernarg_segment_ptr 1
		.amdhsa_user_sgpr_dispatch_id 0
		.amdhsa_user_sgpr_private_segment_size 0
		.amdhsa_wavefront_size32 1
		.amdhsa_uses_dynamic_stack 0
		.amdhsa_enable_private_segment 0
		.amdhsa_system_sgpr_workgroup_id_x 1
		.amdhsa_system_sgpr_workgroup_id_y 0
		.amdhsa_system_sgpr_workgroup_id_z 0
		.amdhsa_system_sgpr_workgroup_info 0
		.amdhsa_system_vgpr_workitem_id 0
		.amdhsa_next_free_vgpr 95
		.amdhsa_next_free_sgpr 21
		.amdhsa_reserve_vcc 1
		.amdhsa_float_round_mode_32 0
		.amdhsa_float_round_mode_16_64 0
		.amdhsa_float_denorm_mode_32 3
		.amdhsa_float_denorm_mode_16_64 3
		.amdhsa_dx10_clamp 1
		.amdhsa_ieee_mode 1
		.amdhsa_fp16_overflow 0
		.amdhsa_workgroup_processor_mode 1
		.amdhsa_memory_ordered 1
		.amdhsa_forward_progress 0
		.amdhsa_shared_vgpr_count 0
		.amdhsa_exception_fp_ieee_invalid_op 0
		.amdhsa_exception_fp_denorm_src 0
		.amdhsa_exception_fp_ieee_div_zero 0
		.amdhsa_exception_fp_ieee_overflow 0
		.amdhsa_exception_fp_ieee_underflow 0
		.amdhsa_exception_fp_ieee_inexact 0
		.amdhsa_exception_int_div_zero 0
	.end_amdhsa_kernel
	.text
.Lfunc_end0:
	.size	fft_rtc_fwd_len3125_factors_5_5_5_5_5_wgs_125_tpt_125_halfLds_half_ip_CI_unitstride_sbrr_dirReg, .Lfunc_end0-fft_rtc_fwd_len3125_factors_5_5_5_5_5_wgs_125_tpt_125_halfLds_half_ip_CI_unitstride_sbrr_dirReg
                                        ; -- End function
	.section	.AMDGPU.csdata,"",@progbits
; Kernel info:
; codeLenInByte = 17600
; NumSgprs: 23
; NumVgprs: 95
; ScratchSize: 0
; MemoryBound: 0
; FloatMode: 240
; IeeeMode: 1
; LDSByteSize: 0 bytes/workgroup (compile time only)
; SGPRBlocks: 2
; VGPRBlocks: 11
; NumSGPRsForWavesPerEU: 23
; NumVGPRsForWavesPerEU: 95
; Occupancy: 16
; WaveLimiterHint : 1
; COMPUTE_PGM_RSRC2:SCRATCH_EN: 0
; COMPUTE_PGM_RSRC2:USER_SGPR: 15
; COMPUTE_PGM_RSRC2:TRAP_HANDLER: 0
; COMPUTE_PGM_RSRC2:TGID_X_EN: 1
; COMPUTE_PGM_RSRC2:TGID_Y_EN: 0
; COMPUTE_PGM_RSRC2:TGID_Z_EN: 0
; COMPUTE_PGM_RSRC2:TIDIG_COMP_CNT: 0
	.text
	.p2alignl 7, 3214868480
	.fill 96, 4, 3214868480
	.type	__hip_cuid_4aac832cfc61ffdc,@object ; @__hip_cuid_4aac832cfc61ffdc
	.section	.bss,"aw",@nobits
	.globl	__hip_cuid_4aac832cfc61ffdc
__hip_cuid_4aac832cfc61ffdc:
	.byte	0                               ; 0x0
	.size	__hip_cuid_4aac832cfc61ffdc, 1

	.ident	"AMD clang version 19.0.0git (https://github.com/RadeonOpenCompute/llvm-project roc-6.4.0 25133 c7fe45cf4b819c5991fe208aaa96edf142730f1d)"
	.section	".note.GNU-stack","",@progbits
	.addrsig
	.addrsig_sym __hip_cuid_4aac832cfc61ffdc
	.amdgpu_metadata
---
amdhsa.kernels:
  - .args:
      - .actual_access:  read_only
        .address_space:  global
        .offset:         0
        .size:           8
        .value_kind:     global_buffer
      - .offset:         8
        .size:           8
        .value_kind:     by_value
      - .actual_access:  read_only
        .address_space:  global
        .offset:         16
        .size:           8
        .value_kind:     global_buffer
      - .actual_access:  read_only
        .address_space:  global
        .offset:         24
        .size:           8
        .value_kind:     global_buffer
      - .offset:         32
        .size:           8
        .value_kind:     by_value
      - .actual_access:  read_only
        .address_space:  global
        .offset:         40
        .size:           8
        .value_kind:     global_buffer
      - .actual_access:  read_only
        .address_space:  global
        .offset:         48
        .size:           8
        .value_kind:     global_buffer
      - .offset:         56
        .size:           4
        .value_kind:     by_value
      - .actual_access:  read_only
        .address_space:  global
        .offset:         64
        .size:           8
        .value_kind:     global_buffer
      - .actual_access:  read_only
        .address_space:  global
        .offset:         72
        .size:           8
        .value_kind:     global_buffer
      - .address_space:  global
        .offset:         80
        .size:           8
        .value_kind:     global_buffer
    .group_segment_fixed_size: 0
    .kernarg_segment_align: 8
    .kernarg_segment_size: 88
    .language:       OpenCL C
    .language_version:
      - 2
      - 0
    .max_flat_workgroup_size: 125
    .name:           fft_rtc_fwd_len3125_factors_5_5_5_5_5_wgs_125_tpt_125_halfLds_half_ip_CI_unitstride_sbrr_dirReg
    .private_segment_fixed_size: 0
    .sgpr_count:     23
    .sgpr_spill_count: 0
    .symbol:         fft_rtc_fwd_len3125_factors_5_5_5_5_5_wgs_125_tpt_125_halfLds_half_ip_CI_unitstride_sbrr_dirReg.kd
    .uniform_work_group_size: 1
    .uses_dynamic_stack: false
    .vgpr_count:     95
    .vgpr_spill_count: 0
    .wavefront_size: 32
    .workgroup_processor_mode: 1
amdhsa.target:   amdgcn-amd-amdhsa--gfx1100
amdhsa.version:
  - 1
  - 2
...

	.end_amdgpu_metadata
